;; amdgpu-corpus repo=ROCm/rocFFT kind=compiled arch=gfx950 opt=O3
	.text
	.amdgcn_target "amdgcn-amd-amdhsa--gfx950"
	.amdhsa_code_object_version 6
	.protected	bluestein_single_back_len1800_dim1_half_op_CI_CI ; -- Begin function bluestein_single_back_len1800_dim1_half_op_CI_CI
	.globl	bluestein_single_back_len1800_dim1_half_op_CI_CI
	.p2align	8
	.type	bluestein_single_back_len1800_dim1_half_op_CI_CI,@function
bluestein_single_back_len1800_dim1_half_op_CI_CI: ; @bluestein_single_back_len1800_dim1_half_op_CI_CI
; %bb.0:
	s_load_dwordx4 s[4:7], s[0:1], 0x28
	v_mul_u32_u24_e32 v1, 0x16d, v0
	v_mov_b32_e32 v19, 0
	v_add_u32_sdwa v20, s2, v1 dst_sel:DWORD dst_unused:UNUSED_PAD src0_sel:DWORD src1_sel:WORD_1
	v_mov_b32_e32 v21, v19
	s_waitcnt lgkmcnt(0)
	v_cmp_gt_u64_e32 vcc, s[4:5], v[20:21]
	s_and_saveexec_b64 s[2:3], vcc
	s_cbranch_execz .LBB0_18
; %bb.1:
	s_load_dwordx4 s[12:15], s[0:1], 0x18
	s_load_dwordx4 s[8:11], s[0:1], 0x0
	v_mov_b32_e32 v2, s6
	v_mov_b32_e32 v3, s7
	s_movk_i32 s2, 0xb4
	s_waitcnt lgkmcnt(0)
	s_load_dwordx4 s[4:7], s[12:13], 0x0
	v_mul_lo_u16_sdwa v1, v1, s2 dst_sel:DWORD dst_unused:UNUSED_PAD src0_sel:WORD_1 src1_sel:DWORD
	v_sub_u16_e32 v18, v0, v1
	v_lshlrev_b32_e32 v16, 2, v18
	global_load_dword v45, v16, s[8:9]
	s_waitcnt lgkmcnt(0)
	v_mad_u64_u32 v[0:1], s[2:3], s6, v20, 0
	v_mov_b32_e32 v4, v1
	v_mad_u64_u32 v[4:5], s[2:3], s7, v20, v[4:5]
	v_mov_b32_e32 v1, v4
	v_mad_u64_u32 v[4:5], s[2:3], s4, v18, 0
	v_mov_b32_e32 v6, v5
	v_mad_u64_u32 v[6:7], s[2:3], s5, v18, v[6:7]
	v_mov_b32_e32 v5, v6
	v_lshl_add_u64 v[0:1], v[0:1], 2, v[2:3]
	v_lshl_add_u64 v[0:1], v[4:5], 2, v[0:1]
	global_load_dword v4, v[0:1], off
	v_mov_b32_e32 v5, 0x2d0
	v_mad_u64_u32 v[0:1], s[2:3], s4, v5, v[0:1]
	s_mulk_i32 s5, 0x2d0
	v_add_u32_e32 v1, s5, v1
	global_load_dword v6, v[0:1], off
	global_load_dword v44, v16, s[8:9] offset:720
	v_mad_u64_u32 v[0:1], s[2:3], s4, v5, v[0:1]
	v_add_u32_e32 v1, s5, v1
	global_load_dword v7, v[0:1], off
	global_load_dword v43, v16, s[8:9] offset:1440
	v_mad_u64_u32 v[0:1], s[2:3], s4, v5, v[0:1]
	;; [unrolled: 4-line block ×4, first 2 shown]
	v_add_u32_e32 v1, s5, v1
	v_mov_b32_e32 v17, v19
	global_load_dword v10, v[0:1], off
	global_load_dword v40, v16, s[8:9] offset:3600
	v_mad_u64_u32 v[0:1], s[2:3], s4, v5, v[0:1]
	v_lshl_add_u64 v[2:3], s[8:9], 0, v[16:17]
	s_movk_i32 s2, 0x1000
	v_add_u32_e32 v1, s5, v1
	v_add_co_u32_e32 v2, vcc, s2, v2
	global_load_dword v11, v[0:1], off
	s_nop 0
	v_addc_co_u32_e32 v3, vcc, 0, v3, vcc
	global_load_dword v39, v[2:3], off offset:224
	v_mad_u64_u32 v[0:1], s[2:3], s4, v5, v[0:1]
	v_add_u32_e32 v1, s5, v1
	global_load_dword v12, v[0:1], off
	global_load_dword v38, v[2:3], off offset:944
	v_mad_u64_u32 v[0:1], s[2:3], s4, v5, v[0:1]
	v_add_u32_e32 v1, s5, v1
	global_load_dword v13, v[0:1], off
	;; [unrolled: 4-line block ×3, first 2 shown]
	global_load_dword v17, v[2:3], off offset:2384
	s_load_dwordx2 s[12:13], s[0:1], 0x38
	s_load_dwordx4 s[4:7], s[14:15], 0x0
	s_movk_i32 s0, 0x3b9c
	s_mov_b32 s3, 0xbb9c
	s_movk_i32 s1, 0x38b4
	s_mov_b32 s14, 0xb8b4
	s_movk_i32 s2, 0x34f2
	s_movk_i32 s15, 0x3a79
	s_waitcnt vmcnt(18)
	v_lshrrev_b32_e32 v0, 16, v4
	v_mul_f16_sdwa v1, v45, v4 dst_sel:DWORD dst_unused:UNUSED_PAD src0_sel:WORD_1 src1_sel:DWORD
	v_mul_f16_sdwa v2, v45, v0 dst_sel:DWORD dst_unused:UNUSED_PAD src0_sel:WORD_1 src1_sel:DWORD
	v_fma_f16 v0, v45, v0, -v1
	v_fma_f16 v1, v45, v4, v2
	s_waitcnt vmcnt(17)
	v_lshrrev_b32_e32 v2, 16, v6
	s_waitcnt vmcnt(16)
	v_mul_f16_sdwa v3, v44, v6 dst_sel:DWORD dst_unused:UNUSED_PAD src0_sel:WORD_1 src1_sel:DWORD
	v_pack_b32_f16 v0, v1, v0
	v_mul_f16_sdwa v1, v44, v2 dst_sel:DWORD dst_unused:UNUSED_PAD src0_sel:WORD_1 src1_sel:DWORD
	v_fma_f16 v2, v44, v2, -v3
	v_fma_f16 v1, v44, v6, v1
	s_waitcnt vmcnt(15)
	v_lshrrev_b32_e32 v3, 16, v7
	s_waitcnt vmcnt(14)
	v_mul_f16_sdwa v4, v43, v7 dst_sel:DWORD dst_unused:UNUSED_PAD src0_sel:WORD_1 src1_sel:DWORD
	v_pack_b32_f16 v1, v1, v2
	v_mul_f16_sdwa v2, v43, v3 dst_sel:DWORD dst_unused:UNUSED_PAD src0_sel:WORD_1 src1_sel:DWORD
	v_fma_f16 v3, v43, v3, -v4
	ds_write2_b32 v16, v0, v1 offset1:180
	v_fma_f16 v0, v43, v7, v2
	s_waitcnt vmcnt(13)
	v_lshrrev_b32_e32 v1, 16, v8
	s_waitcnt vmcnt(12)
	v_mul_f16_sdwa v2, v42, v8 dst_sel:DWORD dst_unused:UNUSED_PAD src0_sel:WORD_1 src1_sel:DWORD
	v_pack_b32_f16 v0, v0, v3
	v_mul_f16_sdwa v3, v42, v1 dst_sel:DWORD dst_unused:UNUSED_PAD src0_sel:WORD_1 src1_sel:DWORD
	v_fma_f16 v1, v42, v1, -v2
	v_fma_f16 v2, v42, v8, v3
	v_pack_b32_f16 v1, v2, v1
	v_add_u32_e32 v6, 0x500, v16
	ds_write2_b32 v6, v0, v1 offset0:40 offset1:220
	s_waitcnt vmcnt(11)
	v_lshrrev_b32_e32 v0, 16, v9
	s_waitcnt vmcnt(10)
	v_mul_f16_sdwa v1, v41, v0 dst_sel:DWORD dst_unused:UNUSED_PAD src0_sel:WORD_1 src1_sel:DWORD
	v_mul_f16_sdwa v2, v41, v9 dst_sel:DWORD dst_unused:UNUSED_PAD src0_sel:WORD_1 src1_sel:DWORD
	v_fma_f16 v1, v41, v9, v1
	v_fma_f16 v0, v41, v0, -v2
	v_pack_b32_f16 v0, v1, v0
	s_waitcnt vmcnt(9)
	v_lshrrev_b32_e32 v1, 16, v10
	s_waitcnt vmcnt(8)
	v_mul_f16_sdwa v2, v40, v1 dst_sel:DWORD dst_unused:UNUSED_PAD src0_sel:WORD_1 src1_sel:DWORD
	v_mul_f16_sdwa v3, v40, v10 dst_sel:DWORD dst_unused:UNUSED_PAD src0_sel:WORD_1 src1_sel:DWORD
	v_fma_f16 v2, v40, v10, v2
	v_fma_f16 v1, v40, v1, -v3
	v_pack_b32_f16 v1, v2, v1
	v_add_u32_e32 v2, 0xb00, v16
	ds_write2_b32 v2, v0, v1 offset0:16 offset1:196
	s_waitcnt vmcnt(7)
	v_lshrrev_b32_e32 v0, 16, v11
	s_waitcnt vmcnt(6)
	v_mul_f16_sdwa v1, v39, v0 dst_sel:DWORD dst_unused:UNUSED_PAD src0_sel:WORD_1 src1_sel:DWORD
	v_mul_f16_sdwa v3, v39, v11 dst_sel:DWORD dst_unused:UNUSED_PAD src0_sel:WORD_1 src1_sel:DWORD
	v_fma_f16 v1, v39, v11, v1
	v_fma_f16 v0, v39, v0, -v3
	v_pack_b32_f16 v0, v1, v0
	s_waitcnt vmcnt(5)
	v_lshrrev_b32_e32 v1, 16, v12
	s_waitcnt vmcnt(4)
	v_mul_f16_sdwa v3, v38, v1 dst_sel:DWORD dst_unused:UNUSED_PAD src0_sel:WORD_1 src1_sel:DWORD
	v_mul_f16_sdwa v4, v38, v12 dst_sel:DWORD dst_unused:UNUSED_PAD src0_sel:WORD_1 src1_sel:DWORD
	v_fma_f16 v3, v38, v12, v3
	v_fma_f16 v1, v38, v1, -v4
	v_pack_b32_f16 v1, v3, v1
	v_add_u32_e32 v4, 0x1000, v16
	ds_write2_b32 v4, v0, v1 offset0:56 offset1:236
	s_waitcnt vmcnt(3)
	v_lshrrev_b32_e32 v0, 16, v13
	s_waitcnt vmcnt(2)
	v_mul_f16_sdwa v1, v21, v0 dst_sel:DWORD dst_unused:UNUSED_PAD src0_sel:WORD_1 src1_sel:DWORD
	v_mul_f16_sdwa v3, v21, v13 dst_sel:DWORD dst_unused:UNUSED_PAD src0_sel:WORD_1 src1_sel:DWORD
	v_fma_f16 v1, v21, v13, v1
	v_fma_f16 v0, v21, v0, -v3
	v_pack_b32_f16 v0, v1, v0
	s_waitcnt vmcnt(1)
	v_lshrrev_b32_e32 v1, 16, v5
	s_waitcnt vmcnt(0)
	v_mul_f16_sdwa v3, v17, v1 dst_sel:DWORD dst_unused:UNUSED_PAD src0_sel:WORD_1 src1_sel:DWORD
	v_fma_f16 v3, v17, v5, v3
	v_mul_f16_sdwa v5, v17, v5 dst_sel:DWORD dst_unused:UNUSED_PAD src0_sel:WORD_1 src1_sel:DWORD
	v_fma_f16 v1, v17, v1, -v5
	v_pack_b32_f16 v1, v3, v1
	v_add_u32_e32 v8, 0x1600, v16
	ds_write2_b32 v8, v0, v1 offset0:32 offset1:212
	s_waitcnt lgkmcnt(0)
	s_barrier
	ds_read2_b32 v[0:1], v16 offset1:180
	ds_read2_b32 v[2:3], v2 offset0:16 offset1:196
	ds_read2_b32 v[4:5], v4 offset0:56 offset1:236
	ds_read2_b32 v[6:7], v6 offset0:40 offset1:220
	ds_read2_b32 v[8:9], v8 offset0:32 offset1:212
	v_mul_lo_u16_e32 v10, 10, v18
	v_lshlrev_b32_e32 v46, 2, v10
	s_waitcnt lgkmcnt(2)
	v_add_f16_e32 v10, v2, v4
	v_fma_f16 v10, v10, -0.5, v0
	s_waitcnt lgkmcnt(0)
	v_sub_f16_sdwa v11, v6, v8 dst_sel:DWORD dst_unused:UNUSED_PAD src0_sel:WORD_1 src1_sel:WORD_1
	v_fma_f16 v12, v11, s0, v10
	v_sub_f16_sdwa v13, v2, v4 dst_sel:DWORD dst_unused:UNUSED_PAD src0_sel:WORD_1 src1_sel:WORD_1
	v_sub_f16_e32 v14, v8, v4
	v_sub_f16_e32 v15, v6, v2
	v_fma_f16 v10, v11, s3, v10
	v_fma_f16 v12, v13, s1, v12
	v_add_f16_e32 v14, v15, v14
	v_fma_f16 v10, v13, s14, v10
	v_fma_f16 v12, v14, s2, v12
	;; [unrolled: 1-line block ×3, first 2 shown]
	v_add_f16_e32 v10, v6, v8
	v_fma_f16 v10, v10, -0.5, v0
	v_fma_f16 v15, v13, s3, v10
	v_sub_f16_e32 v22, v4, v8
	v_sub_f16_e32 v23, v2, v6
	v_fma_f16 v10, v13, s0, v10
	v_add_f16_e32 v22, v23, v22
	v_fma_f16 v10, v11, s14, v10
	v_fma_f16 v15, v11, s1, v15
	;; [unrolled: 1-line block ×3, first 2 shown]
	v_pk_add_f16 v10, v0, v6
	v_fma_f16 v15, v22, s2, v15
	v_pk_add_f16 v10, v10, v2
	v_lshrrev_b32_e32 v0, 16, v0
	v_pk_add_f16 v10, v10, v4
	v_sub_f16_e32 v13, v6, v8
	v_pk_add_f16 v22, v10, v8
	v_add_f16_sdwa v10, v2, v4 dst_sel:DWORD dst_unused:UNUSED_PAD src0_sel:WORD_1 src1_sel:WORD_1
	v_fma_f16 v10, v10, -0.5, v0
	v_fma_f16 v23, v13, s3, v10
	v_sub_f16_e32 v24, v2, v4
	v_sub_f16_sdwa v25, v6, v2 dst_sel:DWORD dst_unused:UNUSED_PAD src0_sel:WORD_1 src1_sel:WORD_1
	v_sub_f16_sdwa v26, v8, v4 dst_sel:DWORD dst_unused:UNUSED_PAD src0_sel:WORD_1 src1_sel:WORD_1
	v_fma_f16 v10, v13, s0, v10
	v_fma_f16 v23, v24, s14, v23
	v_add_f16_e32 v25, v25, v26
	v_fma_f16 v10, v24, s1, v10
	v_fma_f16 v23, v25, s2, v23
	;; [unrolled: 1-line block ×3, first 2 shown]
	v_add_f16_sdwa v10, v6, v8 dst_sel:DWORD dst_unused:UNUSED_PAD src0_sel:WORD_1 src1_sel:WORD_1
	v_fma_f16 v0, v10, -0.5, v0
	v_fma_f16 v10, v24, s0, v0
	v_sub_f16_sdwa v2, v2, v6 dst_sel:DWORD dst_unused:UNUSED_PAD src0_sel:WORD_1 src1_sel:WORD_1
	v_sub_f16_sdwa v4, v4, v8 dst_sel:DWORD dst_unused:UNUSED_PAD src0_sel:WORD_1 src1_sel:WORD_1
	v_fma_f16 v0, v24, s3, v0
	v_fma_f16 v10, v13, s14, v10
	v_add_f16_e32 v2, v2, v4
	v_fma_f16 v0, v13, s1, v0
	v_fma_f16 v4, v2, s2, v10
	;; [unrolled: 1-line block ×3, first 2 shown]
	v_add_f16_e32 v0, v3, v5
	v_fma_f16 v0, v0, -0.5, v1
	v_sub_f16_sdwa v6, v7, v9 dst_sel:DWORD dst_unused:UNUSED_PAD src0_sel:WORD_1 src1_sel:WORD_1
	v_fma_f16 v8, v6, s0, v0
	v_sub_f16_sdwa v10, v3, v5 dst_sel:DWORD dst_unused:UNUSED_PAD src0_sel:WORD_1 src1_sel:WORD_1
	v_sub_f16_e32 v13, v9, v5
	v_sub_f16_e32 v24, v7, v3
	v_fma_f16 v0, v6, s3, v0
	v_fma_f16 v8, v10, s1, v8
	v_add_f16_e32 v13, v24, v13
	v_fma_f16 v0, v10, s14, v0
	v_fma_f16 v8, v13, s2, v8
	;; [unrolled: 1-line block ×3, first 2 shown]
	v_add_f16_e32 v0, v7, v9
	v_fma_f16 v0, v0, -0.5, v1
	v_fma_f16 v24, v10, s3, v0
	v_sub_f16_e32 v26, v5, v9
	v_sub_f16_e32 v27, v3, v7
	v_fma_f16 v0, v10, s0, v0
	v_add_f16_e32 v26, v27, v26
	v_fma_f16 v0, v6, s14, v0
	v_fma_f16 v24, v6, s1, v24
	;; [unrolled: 1-line block ×3, first 2 shown]
	v_pk_add_f16 v0, v1, v7
	v_fma_f16 v24, v26, s2, v24
	v_pk_add_f16 v0, v0, v3
	v_lshrrev_b32_e32 v1, 16, v1
	v_pk_add_f16 v0, v0, v5
	v_sub_f16_e32 v10, v7, v9
	v_pk_add_f16 v26, v0, v9
	v_add_f16_sdwa v0, v3, v5 dst_sel:DWORD dst_unused:UNUSED_PAD src0_sel:WORD_1 src1_sel:WORD_1
	v_fma_f16 v0, v0, -0.5, v1
	v_fma_f16 v27, v10, s3, v0
	v_sub_f16_e32 v28, v3, v5
	v_sub_f16_sdwa v29, v7, v3 dst_sel:DWORD dst_unused:UNUSED_PAD src0_sel:WORD_1 src1_sel:WORD_1
	v_sub_f16_sdwa v30, v9, v5 dst_sel:DWORD dst_unused:UNUSED_PAD src0_sel:WORD_1 src1_sel:WORD_1
	v_fma_f16 v0, v10, s0, v0
	v_fma_f16 v27, v28, s14, v27
	v_add_f16_e32 v29, v29, v30
	v_fma_f16 v0, v28, s1, v0
	v_fma_f16 v27, v29, s2, v27
	;; [unrolled: 1-line block ×3, first 2 shown]
	v_add_f16_sdwa v0, v7, v9 dst_sel:DWORD dst_unused:UNUSED_PAD src0_sel:WORD_1 src1_sel:WORD_1
	v_fma_f16 v0, v0, -0.5, v1
	v_fma_f16 v1, v28, s0, v0
	v_sub_f16_sdwa v3, v3, v7 dst_sel:DWORD dst_unused:UNUSED_PAD src0_sel:WORD_1 src1_sel:WORD_1
	v_sub_f16_sdwa v5, v5, v9 dst_sel:DWORD dst_unused:UNUSED_PAD src0_sel:WORD_1 src1_sel:WORD_1
	v_fma_f16 v0, v28, s3, v0
	v_fma_f16 v1, v10, s14, v1
	v_add_f16_e32 v3, v3, v5
	v_fma_f16 v0, v10, s1, v0
	v_fma_f16 v1, v3, s2, v1
	v_fma_f16 v3, v3, s2, v0
	v_mul_f16_e32 v0, 0x3a79, v8
	v_fma_f16 v5, v27, s1, v0
	v_mul_f16_e32 v0, 0x3b9c, v1
	v_fma_f16 v9, v24, s2, v0
	v_mul_f16_e32 v0, 0x34f2, v6
	v_mul_f16_e32 v8, 0xb8b4, v8
	v_fma_f16 v30, v3, s0, -v0
	v_fma_f16 v27, v27, s15, v8
	v_mul_f16_e32 v8, 0xbb9c, v24
	v_mul_f16_e32 v3, 0x34f2, v3
	;; [unrolled: 1-line block ×3, first 2 shown]
	v_fma_f16 v1, v1, s2, v8
	v_fma_f16 v3, v6, s3, -v3
	v_mul_f16_e32 v8, 0x3a79, v29
	v_add_f16_e32 v7, v12, v5
	v_add_f16_e32 v28, v15, v9
	v_add_f16_e32 v31, v11, v30
	v_fma_f16 v32, v29, s1, -v0
	v_add_f16_e32 v34, v23, v27
	v_add_f16_e32 v35, v4, v1
	;; [unrolled: 1-line block ×3, first 2 shown]
	v_fma_f16 v24, v13, s14, -v8
	v_add_f16_e32 v33, v14, v32
	v_pk_add_f16 v0, v22, v26
	v_add_f16_e32 v29, v25, v24
	v_sub_f16_e32 v8, v12, v5
	v_sub_f16_e32 v10, v15, v9
	;; [unrolled: 1-line block ×6, first 2 shown]
	v_pack_b32_f16 v1, v7, v34
	v_pack_b32_f16 v3, v31, v6
	v_pack_b32_f16 v2, v28, v35
	v_sub_f16_e32 v12, v11, v30
	v_sub_f16_e32 v24, v25, v24
	s_barrier
	ds_write2_b64 v46, v[0:1], v[2:3] offset1:1
	v_pk_add_f16 v1, v22, v26 neg_lo:[0,1] neg_hi:[0,1]
	v_pack_b32_f16 v2, v8, v9
	v_pack_b32_f16 v3, v10, v14
	;; [unrolled: 1-line block ×3, first 2 shown]
	ds_write2_b64 v46, v[0:1], v[2:3] offset0:2 offset1:3
	v_pack_b32_f16 v1, v13, v24
	v_pack_b32_f16 v0, v12, v15
	ds_write_b64 v46, v[0:1] offset:32
	s_waitcnt lgkmcnt(0)
	s_barrier
	ds_read_b32 v11, v16
	ds_read_b32 v29, v16 offset:1200
	ds_read_b32 v28, v16 offset:2400
	;; [unrolled: 1-line block ×5, first 2 shown]
	s_movk_i32 s0, 0x78
	v_cmp_gt_u16_e64 s[0:1], s0, v18
                                        ; implicit-def: $vgpr30
                                        ; implicit-def: $vgpr32
                                        ; implicit-def: $vgpr31
                                        ; implicit-def: $vgpr33
	s_and_saveexec_b64 s[2:3], s[0:1]
	s_cbranch_execz .LBB0_3
; %bb.2:
	ds_read_b32 v8, v16 offset:720
	ds_read_b32 v10, v16 offset:1920
	;; [unrolled: 1-line block ×6, first 2 shown]
	s_waitcnt lgkmcnt(5)
	v_lshrrev_b32_e32 v9, 16, v8
	s_waitcnt lgkmcnt(4)
	v_lshrrev_b32_e32 v14, 16, v10
	;; [unrolled: 2-line block ×6, first 2 shown]
.LBB0_3:
	s_or_b64 exec, exec, s[2:3]
	s_movk_i32 s2, 0xcd
	v_mul_lo_u16_sdwa v0, v18, s2 dst_sel:DWORD dst_unused:UNUSED_PAD src0_sel:BYTE_0 src1_sel:DWORD
	v_lshrrev_b16_e32 v36, 11, v0
	v_mul_lo_u16_e32 v0, 10, v36
	v_sub_u16_e32 v0, v18, v0
	v_and_b32_e32 v37, 0xff, v0
	v_mad_u64_u32 v[4:5], s[2:3], v37, 20, s[10:11]
	s_mov_b64 s[2:3], 0xb4
	s_mov_b32 s14, 0xcccd
	v_lshl_add_u64 v[22:23], v[18:19], 0, s[2:3]
	global_load_dwordx4 v[0:3], v[4:5], off
	global_load_dword v47, v[4:5], off offset:16
	v_mul_u32_u24_sdwa v4, v22, s14 dst_sel:DWORD dst_unused:UNUSED_PAD src0_sel:WORD_0 src1_sel:DWORD
	v_lshrrev_b32_e32 v49, 19, v4
	v_mul_lo_u16_e32 v4, 10, v49
	v_sub_u16_e32 v51, v22, v4
	v_mov_b32_e32 v5, 0
	v_mul_lo_u16_e32 v4, 20, v51
	v_lshl_add_u64 v[34:35], s[10:11], 0, v[4:5]
	global_load_dwordx4 v[4:7], v[34:35], off
	global_load_dword v48, v[34:35], off offset:16
	s_waitcnt lgkmcnt(4)
	v_lshrrev_b32_e32 v23, 16, v29
	s_waitcnt lgkmcnt(3)
	v_lshrrev_b32_e32 v35, 16, v28
	;; [unrolled: 2-line block ×5, first 2 shown]
	v_lshrrev_b32_e32 v34, 16, v11
	s_movk_i32 s2, 0x3aee
	s_mov_b32 s3, 0xbaee
	v_mul_u32_u24_e32 v36, 60, v36
	s_barrier
	v_mad_legacy_u16 v49, v49, 60, v51
	s_waitcnt vmcnt(3)
	v_mul_f16_sdwa v54, v23, v0 dst_sel:DWORD dst_unused:UNUSED_PAD src0_sel:DWORD src1_sel:WORD_1
	v_mul_f16_sdwa v55, v29, v0 dst_sel:DWORD dst_unused:UNUSED_PAD src0_sel:DWORD src1_sel:WORD_1
	;; [unrolled: 1-line block ×8, first 2 shown]
	s_waitcnt vmcnt(2)
	v_mul_f16_sdwa v62, v53, v47 dst_sel:DWORD dst_unused:UNUSED_PAD src0_sel:DWORD src1_sel:WORD_1
	v_mul_f16_sdwa v63, v25, v47 dst_sel:DWORD dst_unused:UNUSED_PAD src0_sel:DWORD src1_sel:WORD_1
	v_fma_f16 v29, v29, v0, -v54
	v_fma_f16 v54, v23, v0, v55
	v_fma_f16 v28, v28, v1, -v56
	v_fma_f16 v35, v35, v1, v57
	;; [unrolled: 2-line block ×5, first 2 shown]
	s_waitcnt vmcnt(1)
	v_mul_f16_sdwa v23, v14, v4 dst_sel:DWORD dst_unused:UNUSED_PAD src0_sel:DWORD src1_sel:WORD_1
	v_mul_f16_sdwa v25, v10, v4 dst_sel:DWORD dst_unused:UNUSED_PAD src0_sel:DWORD src1_sel:WORD_1
	;; [unrolled: 1-line block ×6, first 2 shown]
	s_waitcnt vmcnt(0)
	v_mul_f16_sdwa v62, v33, v48 dst_sel:DWORD dst_unused:UNUSED_PAD src0_sel:DWORD src1_sel:WORD_1
	v_mul_f16_sdwa v63, v31, v48 dst_sel:DWORD dst_unused:UNUSED_PAD src0_sel:DWORD src1_sel:WORD_1
	;; [unrolled: 1-line block ×4, first 2 shown]
	v_fma_f16 v10, v10, v4, -v23
	v_fma_f16 v14, v14, v4, v25
	v_fma_f16 v12, v12, v5, -v26
	v_fma_f16 v25, v15, v5, v27
	v_fma_f16 v24, v24, v6, v59
	;; [unrolled: 1-line block ×3, first 2 shown]
	v_fma_f16 v23, v31, v48, -v62
	v_fma_f16 v27, v33, v48, v63
	v_add_f16_e32 v31, v28, v56
	v_sub_f16_e32 v32, v35, v52
	v_add_f16_e32 v33, v34, v35
	v_add_f16_e32 v35, v35, v52
	;; [unrolled: 1-line block ×3, first 2 shown]
	v_fma_f16 v13, v13, v6, -v58
	v_fma_f16 v15, v30, v7, -v60
	v_add_f16_e32 v30, v11, v28
	v_sub_f16_e32 v28, v28, v56
	v_add_f16_e32 v58, v29, v55
	v_sub_f16_e32 v60, v50, v53
	v_fma_f16 v11, v31, -0.5, v11
	v_add_f16_e32 v31, v33, v52
	v_fma_f16 v33, v35, -0.5, v34
	v_fma_f16 v29, v59, -0.5, v29
	v_add_f16_e32 v52, v54, v50
	v_add_f16_e32 v50, v50, v53
	v_fma_f16 v35, v32, s2, v11
	v_fma_f16 v11, v32, s3, v11
	;; [unrolled: 1-line block ×6, first 2 shown]
	v_add_f16_e32 v52, v52, v53
	v_fma_f16 v50, v50, -0.5, v54
	v_sub_f16_e32 v53, v55, v57
	v_fma_f16 v54, v53, s3, v50
	v_fma_f16 v50, v53, s2, v50
	v_mul_f16_e32 v55, -0.5, v29
	v_fma_f16 v55, v50, s2, v55
	v_mul_f16_e32 v50, -0.5, v50
	v_add_f16_e32 v59, v11, v55
	v_fma_f16 v29, v29, s3, v50
	v_sub_f16_e32 v64, v11, v55
	v_add_f16_e32 v11, v12, v15
	v_add_f16_e32 v62, v28, v29
	v_sub_f16_e32 v66, v28, v29
	v_fma_f16 v28, v11, -0.5, v8
	v_sub_f16_e32 v29, v25, v26
	v_add_f16_e32 v30, v30, v56
	v_add_f16_e32 v34, v58, v57
	v_mul_f16_e32 v53, 0x3aee, v54
	v_fma_f16 v11, v29, s2, v28
	v_fma_f16 v28, v29, s3, v28
	v_add_f16_e32 v29, v25, v26
	v_add_f16_e32 v57, v30, v34
	v_fma_f16 v53, v33, 0.5, v53
	v_add_f16_e32 v60, v31, v52
	v_mul_f16_e32 v33, 0xbaee, v33
	v_sub_f16_e32 v63, v30, v34
	v_sub_f16_e32 v52, v31, v52
	v_fma_f16 v30, v29, -0.5, v9
	v_sub_f16_e32 v31, v12, v15
	v_fma_f16 v33, v54, 0.5, v33
	v_fma_f16 v29, v31, s3, v30
	v_fma_f16 v30, v31, s2, v30
	v_add_f16_e32 v31, v13, v23
	v_add_f16_e32 v61, v32, v33
	v_sub_f16_e32 v65, v32, v33
	v_fma_f16 v31, v31, -0.5, v10
	v_sub_f16_e32 v32, v24, v27
	v_fma_f16 v33, v32, s2, v31
	v_fma_f16 v34, v32, s3, v31
	v_add_f16_e32 v31, v24, v27
	v_fma_f16 v31, v31, -0.5, v14
	v_sub_f16_e32 v32, v13, v23
	v_fma_f16 v50, v32, s3, v31
	v_add_f16_e32 v58, v35, v53
	v_sub_f16_e32 v35, v35, v53
	v_fma_f16 v53, v32, s2, v31
	v_mul_f16_e32 v31, 0x3aee, v50
	v_fma_f16 v31, v33, 0.5, v31
	v_mul_f16_e32 v33, 0xbaee, v33
	v_fma_f16 v33, v50, 0.5, v33
	v_mul_f16_e32 v50, -0.5, v53
	v_mul_f16_e32 v32, -0.5, v34
	v_fma_f16 v34, v34, s3, v50
	v_add_lshl_u32 v50, v36, v37, 2
	v_pack_b32_f16 v36, v57, v60
	v_pack_b32_f16 v37, v58, v61
	v_fma_f16 v32, v53, s2, v32
	ds_write2_b32 v50, v36, v37 offset1:10
	v_pack_b32_f16 v36, v59, v62
	v_pack_b32_f16 v37, v63, v52
	v_sub_f16_e32 v53, v11, v31
	v_sub_f16_e32 v54, v28, v32
	;; [unrolled: 1-line block ×4, first 2 shown]
	ds_write2_b32 v50, v36, v37 offset0:20 offset1:30
	v_pack_b32_f16 v35, v35, v65
	v_pack_b32_f16 v36, v64, v66
	ds_write2_b32 v50, v35, v36 offset0:40 offset1:50
	s_and_saveexec_b64 s[2:3], s[0:1]
	s_cbranch_execz .LBB0_5
; %bb.4:
	v_add_f16_e32 v9, v9, v25
	v_add_f16_e32 v14, v14, v24
	;; [unrolled: 1-line block ×8, first 2 shown]
	v_sub_f16_e32 v24, v9, v14
	v_sub_f16_e32 v12, v8, v10
	v_add_f16_e32 v15, v29, v33
	v_add_f16_e32 v9, v9, v14
	;; [unrolled: 1-line block ×6, first 2 shown]
	v_lshlrev_b32_e32 v10, 2, v49
	v_pack_b32_f16 v8, v8, v9
	v_pack_b32_f16 v9, v11, v15
	ds_write2_b32 v10, v8, v9 offset1:10
	v_pack_b32_f16 v8, v14, v13
	v_pack_b32_f16 v9, v12, v24
	s_mov_b32 s14, 0x5040100
	ds_write2_b32 v10, v8, v9 offset0:20 offset1:30
	v_perm_b32 v8, v55, v53, s14
	v_perm_b32 v9, v56, v54, s14
	ds_write2_b32 v10, v8, v9 offset0:40 offset1:50
.LBB0_5:
	s_or_b64 exec, exec, s[2:3]
	s_movk_i32 s2, 0x89
	v_mul_lo_u16_sdwa v8, v18, s2 dst_sel:DWORD dst_unused:UNUSED_PAD src0_sel:BYTE_0 src1_sel:DWORD
	v_lshrrev_b16_e32 v23, 13, v8
	v_mul_lo_u16_e32 v8, 60, v23
	v_sub_u16_e32 v8, v18, v8
	v_and_b32_e32 v34, 0xff, v8
	v_mad_u64_u32 v[24:25], s[2:3], v34, 36, s[10:11]
	s_waitcnt lgkmcnt(0)
	s_barrier
	global_load_dwordx4 v[8:11], v[24:25], off offset:200
	global_load_dwordx4 v[12:15], v[24:25], off offset:216
	global_load_dword v51, v[24:25], off offset:232
	v_add_u32_e32 v26, 0x500, v16
	v_add_u32_e32 v28, 0xb00, v16
	;; [unrolled: 1-line block ×4, first 2 shown]
	ds_read2_b32 v[24:25], v16 offset1:180
	ds_read2_b32 v[26:27], v26 offset0:40 offset1:220
	ds_read2_b32 v[28:29], v28 offset0:16 offset1:196
	;; [unrolled: 1-line block ×4, first 2 shown]
	s_movk_i32 s2, 0x3b9c
	s_waitcnt lgkmcnt(3)
	v_lshrrev_b32_e32 v37, 16, v26
	s_waitcnt lgkmcnt(2)
	v_lshrrev_b32_e32 v57, 16, v28
	;; [unrolled: 2-line block ×4, first 2 shown]
	v_lshrrev_b32_e32 v36, 16, v25
	v_lshrrev_b32_e32 v52, 16, v27
	s_mov_b32 s15, 0xbb9c
	s_movk_i32 s3, 0x38b4
	s_mov_b32 s16, 0xb8b4
	v_lshrrev_b32_e32 v35, 16, v24
	s_movk_i32 s14, 0x34f2
	v_lshrrev_b32_e32 v58, 16, v29
	v_lshrrev_b32_e32 v60, 16, v31
	;; [unrolled: 1-line block ×3, first 2 shown]
	s_movk_i32 s17, 0x3a79
	v_mul_u32_u24_e32 v23, 0x258, v23
	s_barrier
	s_waitcnt vmcnt(2)
	v_mul_f16_sdwa v69, v57, v11 dst_sel:DWORD dst_unused:UNUSED_PAD src0_sel:DWORD src1_sel:WORD_1
	s_waitcnt vmcnt(1)
	v_mul_f16_sdwa v73, v59, v13 dst_sel:DWORD dst_unused:UNUSED_PAD src0_sel:DWORD src1_sel:WORD_1
	v_mul_f16_sdwa v64, v25, v8 dst_sel:DWORD dst_unused:UNUSED_PAD src0_sel:DWORD src1_sel:WORD_1
	;; [unrolled: 1-line block ×8, first 2 shown]
	v_fma_f16 v28, v28, v11, -v69
	v_fma_f16 v30, v30, v13, -v73
	v_mul_f16_sdwa v63, v36, v8 dst_sel:DWORD dst_unused:UNUSED_PAD src0_sel:DWORD src1_sel:WORD_1
	v_mul_f16_sdwa v67, v52, v10 dst_sel:DWORD dst_unused:UNUSED_PAD src0_sel:DWORD src1_sel:WORD_1
	;; [unrolled: 1-line block ×3, first 2 shown]
	v_fma_f16 v36, v36, v8, v64
	v_fma_f16 v26, v26, v9, -v65
	v_fma_f16 v37, v37, v9, v66
	v_fma_f16 v32, v32, v15, -v77
	v_fma_f16 v61, v61, v15, v78
	v_add_f16_e32 v64, v28, v30
	v_fma_f16 v27, v27, v10, -v67
	v_fma_f16 v52, v52, v10, v68
	v_fma_f16 v57, v57, v11, v70
	;; [unrolled: 1-line block ×3, first 2 shown]
	v_sub_f16_e32 v65, v37, v61
	v_sub_f16_e32 v67, v26, v28
	;; [unrolled: 1-line block ×3, first 2 shown]
	v_add_f16_e32 v69, v26, v32
	v_fma_f16 v64, v64, -0.5, v24
	v_fma_f16 v25, v25, v8, -v63
	v_add_f16_e32 v63, v24, v26
	v_sub_f16_e32 v66, v57, v59
	v_add_f16_e32 v67, v67, v68
	v_fma_f16 v24, v69, -0.5, v24
	v_fma_f16 v68, v65, s2, v64
	v_fma_f16 v64, v65, s15, v64
	v_add_f16_e32 v63, v63, v28
	v_fma_f16 v69, v66, s15, v24
	v_fma_f16 v68, v66, s3, v68
	;; [unrolled: 1-line block ×4, first 2 shown]
	v_add_f16_e32 v66, v57, v59
	v_add_f16_e32 v63, v63, v30
	v_fma_f16 v68, v67, s14, v68
	v_fma_f16 v64, v67, s14, v64
	;; [unrolled: 1-line block ×3, first 2 shown]
	v_sub_f16_e32 v69, v28, v26
	v_sub_f16_e32 v70, v30, v32
	v_fma_f16 v66, v66, -0.5, v35
	v_sub_f16_e32 v26, v26, v32
	v_add_f16_e32 v63, v63, v32
	v_add_f16_e32 v69, v69, v70
	v_fma_f16 v24, v65, s16, v24
	v_fma_f16 v32, v26, s15, v66
	v_sub_f16_e32 v28, v28, v30
	v_fma_f16 v67, v69, s14, v67
	v_fma_f16 v24, v69, s14, v24
	;; [unrolled: 1-line block ×3, first 2 shown]
	v_sub_f16_e32 v32, v37, v57
	v_sub_f16_e32 v69, v61, v59
	v_fma_f16 v66, v26, s2, v66
	v_add_f16_e32 v32, v32, v69
	v_fma_f16 v66, v28, s3, v66
	v_fma_f16 v30, v32, s14, v30
	;; [unrolled: 1-line block ×3, first 2 shown]
	v_add_f16_e32 v66, v37, v61
	v_mul_f16_sdwa v71, v58, v12 dst_sel:DWORD dst_unused:UNUSED_PAD src0_sel:DWORD src1_sel:WORD_1
	v_mul_f16_sdwa v75, v60, v14 dst_sel:DWORD dst_unused:UNUSED_PAD src0_sel:DWORD src1_sel:WORD_1
	v_add_f16_e32 v65, v35, v37
	v_fma_f16 v35, v66, -0.5, v35
	v_mul_f16_sdwa v72, v29, v12 dst_sel:DWORD dst_unused:UNUSED_PAD src0_sel:DWORD src1_sel:WORD_1
	v_mul_f16_sdwa v76, v31, v14 dst_sel:DWORD dst_unused:UNUSED_PAD src0_sel:DWORD src1_sel:WORD_1
	s_waitcnt vmcnt(0)
	v_mul_f16_sdwa v80, v33, v51 dst_sel:DWORD dst_unused:UNUSED_PAD src0_sel:DWORD src1_sel:WORD_1
	v_fma_f16 v29, v29, v12, -v71
	v_fma_f16 v31, v31, v14, -v75
	v_add_f16_e32 v65, v65, v57
	v_fma_f16 v66, v28, s2, v35
	v_sub_f16_e32 v37, v57, v37
	v_sub_f16_e32 v57, v59, v61
	v_fma_f16 v28, v28, s15, v35
	v_mul_f16_sdwa v79, v62, v51 dst_sel:DWORD dst_unused:UNUSED_PAD src0_sel:DWORD src1_sel:WORD_1
	v_fma_f16 v62, v62, v51, v80
	v_fma_f16 v66, v26, s16, v66
	v_add_f16_e32 v37, v37, v57
	v_fma_f16 v26, v26, s3, v28
	v_add_f16_e32 v35, v29, v31
	v_fma_f16 v58, v58, v12, v72
	v_fma_f16 v60, v60, v14, v76
	v_fma_f16 v33, v33, v51, -v79
	v_add_f16_e32 v65, v65, v59
	v_fma_f16 v59, v37, s14, v66
	v_fma_f16 v26, v37, s14, v26
	v_fma_f16 v35, v35, -0.5, v25
	v_sub_f16_e32 v37, v52, v62
	v_add_f16_e32 v65, v65, v61
	v_fma_f16 v57, v37, s2, v35
	v_sub_f16_e32 v61, v58, v60
	v_sub_f16_e32 v66, v27, v29
	;; [unrolled: 1-line block ×3, first 2 shown]
	v_fma_f16 v35, v37, s15, v35
	v_fma_f16 v57, v61, s3, v57
	v_add_f16_e32 v66, v66, v69
	v_fma_f16 v35, v61, s16, v35
	v_fma_f16 v57, v66, s14, v57
	;; [unrolled: 1-line block ×3, first 2 shown]
	v_add_f16_e32 v66, v27, v33
	v_add_f16_e32 v28, v25, v27
	v_fma_f16 v25, v66, -0.5, v25
	v_add_f16_e32 v28, v28, v29
	v_fma_f16 v66, v61, s15, v25
	v_fma_f16 v25, v61, s2, v25
	v_add_f16_e32 v61, v58, v60
	v_add_f16_e32 v28, v28, v31
	v_sub_f16_e32 v69, v29, v27
	v_sub_f16_e32 v70, v31, v33
	v_fma_f16 v61, v61, -0.5, v36
	v_sub_f16_e32 v27, v27, v33
	v_add_f16_e32 v28, v28, v33
	v_fma_f16 v66, v37, s3, v66
	v_add_f16_e32 v69, v69, v70
	v_fma_f16 v25, v37, s16, v25
	v_fma_f16 v33, v27, s15, v61
	v_sub_f16_e32 v29, v29, v31
	v_fma_f16 v66, v69, s14, v66
	v_fma_f16 v25, v69, s14, v25
	;; [unrolled: 1-line block ×3, first 2 shown]
	v_sub_f16_e32 v33, v52, v58
	v_sub_f16_e32 v69, v62, v60
	v_fma_f16 v61, v27, s2, v61
	v_add_f16_e32 v33, v33, v69
	v_fma_f16 v61, v29, s3, v61
	v_fma_f16 v31, v33, s14, v31
	;; [unrolled: 1-line block ×3, first 2 shown]
	v_add_f16_e32 v61, v52, v62
	v_add_f16_e32 v37, v36, v52
	v_fma_f16 v36, v61, -0.5, v36
	v_add_f16_e32 v37, v37, v58
	v_fma_f16 v61, v29, s2, v36
	v_sub_f16_e32 v52, v58, v52
	v_sub_f16_e32 v58, v60, v62
	v_fma_f16 v29, v29, s15, v36
	v_add_f16_e32 v37, v37, v60
	v_fma_f16 v61, v27, s16, v61
	v_add_f16_e32 v52, v52, v58
	v_fma_f16 v27, v27, s3, v29
	v_mul_f16_e32 v36, 0x38b4, v31
	v_add_f16_e32 v37, v37, v62
	v_fma_f16 v58, v52, s14, v61
	v_fma_f16 v27, v52, s14, v27
	;; [unrolled: 1-line block ×3, first 2 shown]
	v_mul_f16_e32 v62, 0x34f2, v25
	v_mul_f16_e32 v57, 0xb8b4, v57
	;; [unrolled: 1-line block ×3, first 2 shown]
	v_fma_f16 v62, v27, s2, -v62
	v_mul_f16_e32 v70, 0x3a79, v35
	v_fma_f16 v31, v31, s17, v57
	v_mul_f16_e32 v57, 0xbb9c, v66
	v_mul_f16_e32 v27, 0x34f2, v27
	v_add_f16_e32 v29, v63, v28
	v_add_f16_e32 v60, v68, v36
	v_fma_f16 v52, v66, s14, v52
	v_fma_f16 v70, v33, s3, -v70
	v_add_f16_e32 v72, v65, v37
	v_add_f16_e32 v73, v30, v31
	v_fma_f16 v58, v58, s14, v57
	v_fma_f16 v25, v25, s15, -v27
	v_mul_f16_e32 v33, 0x3a79, v33
	v_add_f16_e32 v61, v67, v52
	v_add_f16_e32 v69, v24, v62
	;; [unrolled: 1-line block ×4, first 2 shown]
	v_fma_f16 v33, v35, s16, -v33
	v_sub_f16_e32 v28, v63, v28
	v_sub_f16_e32 v63, v67, v52
	;; [unrolled: 1-line block ×3, first 2 shown]
	v_add_lshl_u32 v52, v23, v34, 2
	v_pack_b32_f16 v23, v29, v72
	v_pack_b32_f16 v26, v60, v73
	v_add_f16_e32 v71, v64, v70
	v_add_f16_e32 v35, v32, v33
	v_sub_f16_e32 v37, v65, v37
	ds_write2_b32 v52, v23, v26 offset1:60
	v_pack_b32_f16 v23, v61, v66
	v_pack_b32_f16 v26, v69, v27
	v_sub_f16_e32 v36, v68, v36
	v_sub_f16_e32 v30, v30, v31
	;; [unrolled: 1-line block ×3, first 2 shown]
	ds_write2_b32 v52, v23, v26 offset0:120 offset1:180
	v_pack_b32_f16 v23, v71, v35
	v_pack_b32_f16 v26, v28, v37
	v_add_u32_e32 v27, 0x200, v52
	v_sub_f16_e32 v24, v24, v62
	v_sub_f16_e32 v57, v64, v70
	;; [unrolled: 1-line block ×3, first 2 shown]
	ds_write2_b32 v27, v23, v26 offset0:112 offset1:172
	v_pack_b32_f16 v23, v36, v30
	v_pack_b32_f16 v26, v63, v31
	v_add_u32_e32 v27, 0x400, v52
	ds_write2_b32 v27, v23, v26 offset0:104 offset1:164
	v_pack_b32_f16 v23, v24, v25
	v_pack_b32_f16 v24, v57, v58
	v_add_u32_e32 v25, 0x600, v52
	ds_write2_b32 v25, v23, v24 offset0:96 offset1:156
	v_add_u32_e32 v23, 0x580, v16
	s_waitcnt lgkmcnt(0)
	s_barrier
	ds_read2_b32 v[30:31], v23 offset0:8 offset1:248
	v_add_u32_e32 v23, 0x1200, v16
	v_add_u32_e32 v59, 0xc00, v16
	ds_read2_b32 v[32:33], v16 offset1:180
	ds_read2_b32 v[36:37], v23 offset0:48 offset1:228
	ds_read2_b32 v[34:35], v59 offset0:12 offset1:192
	ds_read_b32 v60, v16 offset:6240
	v_cmp_gt_u16_e64 s[2:3], 60, v18
	s_and_saveexec_b64 s[14:15], s[2:3]
	s_cbranch_execz .LBB0_7
; %bb.6:
	ds_read_b32 v57, v16 offset:2160
	ds_read_b32 v53, v16 offset:4560
	;; [unrolled: 1-line block ×3, first 2 shown]
	s_waitcnt lgkmcnt(2)
	v_lshrrev_b32_e32 v58, 16, v57
	s_waitcnt lgkmcnt(1)
	v_lshrrev_b32_e32 v55, 16, v53
	;; [unrolled: 2-line block ×3, first 2 shown]
.LBB0_7:
	s_or_b64 exec, exec, s[14:15]
	v_lshlrev_b32_e32 v23, 3, v18
	v_lshlrev_b32_e32 v22, 3, v22
	s_movk_i32 s16, 0xffc4
	global_load_dwordx2 v[24:25], v23, s[10:11] offset:2360
	global_load_dwordx2 v[26:27], v22, s[10:11] offset:2360
	v_add_u32_e32 v22, 0xb40, v23
	s_mov_b64 s[14:15], 0x21c
	s_mov_b32 s17, -1
	global_load_dwordx2 v[28:29], v22, s[10:11] offset:2360
	v_lshl_add_u64 v[22:23], v[18:19], 0, s[14:15]
	v_lshl_add_u64 v[62:63], v[18:19], 0, s[16:17]
	v_cndmask_b32_e64 v23, v63, v23, s[2:3]
	v_cndmask_b32_e64 v22, v62, v22, s[2:3]
	v_lshl_add_u64 v[22:23], v[22:23], 3, s[10:11]
	global_load_dwordx2 v[22:23], v[22:23], off offset:2360
	s_waitcnt lgkmcnt(2)
	v_lshrrev_b32_e32 v62, 16, v36
	v_lshrrev_b32_e32 v61, 16, v31
	s_waitcnt lgkmcnt(0)
	v_lshrrev_b32_e32 v68, 16, v60
	v_lshrrev_b32_e32 v19, 16, v32
	;; [unrolled: 1-line block ×5, first 2 shown]
	s_movk_i32 s10, 0x3aee
	s_mov_b32 s11, 0xbaee
	v_lshrrev_b32_e32 v63, 16, v33
	v_lshrrev_b32_e32 v66, 16, v30
	s_waitcnt vmcnt(3)
	v_mul_f16_sdwa v70, v31, v24 dst_sel:DWORD dst_unused:UNUSED_PAD src0_sel:DWORD src1_sel:WORD_1
	v_mul_f16_sdwa v71, v62, v25 dst_sel:DWORD dst_unused:UNUSED_PAD src0_sel:DWORD src1_sel:WORD_1
	;; [unrolled: 1-line block ×4, first 2 shown]
	v_fma_f16 v61, v61, v24, v70
	v_fma_f16 v36, v36, v25, -v71
	v_fma_f16 v62, v62, v25, v72
	s_waitcnt vmcnt(1)
	v_mul_f16_sdwa v71, v68, v29 dst_sel:DWORD dst_unused:UNUSED_PAD src0_sel:DWORD src1_sel:WORD_1
	v_mul_f16_sdwa v72, v60, v29 dst_sel:DWORD dst_unused:UNUSED_PAD src0_sel:DWORD src1_sel:WORD_1
	;; [unrolled: 1-line block ×4, first 2 shown]
	v_fma_f16 v31, v31, v24, -v69
	v_mul_f16_sdwa v69, v67, v28 dst_sel:DWORD dst_unused:UNUSED_PAD src0_sel:DWORD src1_sel:WORD_1
	v_mul_f16_sdwa v70, v35, v28 dst_sel:DWORD dst_unused:UNUSED_PAD src0_sel:DWORD src1_sel:WORD_1
	v_fma_f16 v60, v60, v29, -v71
	v_fma_f16 v68, v68, v29, v72
	v_sub_f16_e32 v71, v61, v62
	v_add_f16_e32 v72, v19, v61
	v_add_f16_e32 v61, v61, v62
	v_mul_f16_sdwa v74, v34, v26 dst_sel:DWORD dst_unused:UNUSED_PAD src0_sel:DWORD src1_sel:WORD_1
	v_mul_f16_sdwa v76, v37, v27 dst_sel:DWORD dst_unused:UNUSED_PAD src0_sel:DWORD src1_sel:WORD_1
	v_fma_f16 v34, v34, v26, -v73
	v_fma_f16 v37, v37, v27, -v75
	;; [unrolled: 1-line block ×3, first 2 shown]
	v_fma_f16 v67, v67, v28, v70
	v_add_f16_e32 v35, v32, v31
	v_add_f16_e32 v70, v31, v36
	v_sub_f16_e32 v31, v31, v36
	s_waitcnt vmcnt(0)
	v_mul_f16_sdwa v78, v53, v22 dst_sel:DWORD dst_unused:UNUSED_PAD src0_sel:DWORD src1_sel:WORD_1
	v_mul_f16_sdwa v80, v54, v23 dst_sel:DWORD dst_unused:UNUSED_PAD src0_sel:DWORD src1_sel:WORD_1
	v_fma_f16 v19, v61, -0.5, v19
	v_fma_f16 v64, v64, v26, v74
	v_add_f16_e32 v73, v33, v34
	v_add_f16_e32 v74, v34, v37
	v_sub_f16_e32 v77, v34, v37
	v_mul_f16_sdwa v34, v55, v22 dst_sel:DWORD dst_unused:UNUSED_PAD src0_sel:DWORD src1_sel:WORD_1
	v_mul_f16_sdwa v79, v56, v23 dst_sel:DWORD dst_unused:UNUSED_PAD src0_sel:DWORD src1_sel:WORD_1
	v_add_f16_e32 v81, v35, v36
	v_fma_f16 v32, v70, -0.5, v32
	v_fma_f16 v35, v55, v22, v78
	v_fma_f16 v36, v56, v23, v80
	;; [unrolled: 1-line block ×4, first 2 shown]
	v_add_f16_e32 v19, v30, v69
	v_fma_f16 v61, v74, -0.5, v33
	v_fma_f16 v33, v53, v22, -v34
	v_fma_f16 v34, v54, v23, -v79
	v_fma_f16 v53, v71, s10, v32
	v_fma_f16 v54, v71, s11, v32
	v_add_f16_e32 v71, v19, v60
	v_add_f16_e32 v19, v69, v60
	v_fma_f16 v19, v19, -0.5, v30
	v_sub_f16_e32 v30, v67, v68
	v_fma_f16 v65, v65, v27, v76
	v_add_f16_e32 v62, v72, v62
	v_add_f16_e32 v37, v73, v37
	v_fma_f16 v72, v30, s10, v19
	v_fma_f16 v73, v30, s11, v19
	v_add_f16_e32 v19, v66, v67
	v_sub_f16_e32 v75, v64, v65
	v_add_f16_e32 v76, v63, v64
	v_add_f16_e32 v64, v64, v65
	;; [unrolled: 1-line block ×4, first 2 shown]
	v_fma_f16 v63, v64, -0.5, v63
	v_fma_f16 v19, v19, -0.5, v66
	v_sub_f16_e32 v30, v69, v60
	v_pack_b32_f16 v53, v53, v55
	v_add_f16_e32 v65, v76, v65
	v_fma_f16 v64, v75, s10, v61
	v_fma_f16 v61, v75, s11, v61
	;; [unrolled: 1-line block ×6, first 2 shown]
	v_add_f16_e32 v19, v33, v34
	ds_write_b32 v16, v53 offset:2400
	v_pack_b32_f16 v53, v54, v56
	v_fma_f16 v30, v19, -0.5, v57
	v_sub_f16_e32 v31, v35, v36
	v_pack_b32_f16 v62, v81, v62
	ds_write_b32 v16, v53 offset:4800
	v_pack_b32_f16 v37, v37, v65
	v_pack_b32_f16 v53, v61, v63
	v_fma_f16 v19, v31, s10, v30
	v_fma_f16 v30, v31, s11, v30
	v_add_f16_e32 v31, v35, v36
	ds_write2_b32 v16, v62, v37 offset1:180
	ds_write_b32 v16, v53 offset:5520
	v_pack_b32_f16 v53, v71, v74
	v_fma_f16 v31, v31, -0.5, v58
	v_sub_f16_e32 v67, v33, v34
	v_pack_b32_f16 v37, v64, v70
	ds_write_b32 v16, v53 offset:1440
	v_pack_b32_f16 v53, v72, v60
	v_fma_f16 v32, v67, s11, v31
	v_fma_f16 v31, v67, s10, v31
	ds_write2_b32 v59, v37, v53 offset0:12 offset1:192
	v_pack_b32_f16 v37, v73, v66
	ds_write_b32 v16, v37 offset:6240
	s_and_saveexec_b64 s[10:11], s[2:3]
	s_cbranch_execz .LBB0_9
; %bb.8:
	v_add_f16_e32 v35, v58, v35
	v_add_f16_e32 v33, v57, v33
	;; [unrolled: 1-line block ×4, first 2 shown]
	v_pack_b32_f16 v33, v33, v35
	s_mov_b32 s14, 0x5040100
	ds_write_b32 v16, v33 offset:2160
	v_perm_b32 v33, v32, v19, s14
	ds_write_b32 v16, v33 offset:4560
	v_perm_b32 v33, v31, v30, s14
	ds_write_b32 v16, v33 offset:6960
.LBB0_9:
	s_or_b64 exec, exec, s[10:11]
	v_lshlrev_b32_e32 v34, 2, v18
	v_mov_b32_e32 v35, 0
	v_lshl_add_u64 v[34:35], s[8:9], 0, v[34:35]
	s_mov_b64 s[8:9], 0x1c20
	v_add_co_u32_e32 v54, vcc, 0x1000, v34
	v_lshl_add_u64 v[36:37], v[34:35], 0, s[8:9]
	s_nop 0
	v_addc_co_u32_e32 v55, vcc, 0, v35, vcc
	s_waitcnt lgkmcnt(0)
	s_barrier
	global_load_dword v33, v[36:37], off offset:720
	global_load_dword v58, v[36:37], off offset:1440
	;; [unrolled: 1-line block ×3, first 2 shown]
	s_movk_i32 s8, 0x2000
	v_add_co_u32_e32 v54, vcc, s8, v34
	s_movk_i32 s8, 0x3000
	s_nop 0
	v_addc_co_u32_e32 v55, vcc, 0, v35, vcc
	global_load_dword v59, v[36:37], off offset:2160
	global_load_dword v60, v[36:37], off offset:2880
	;; [unrolled: 1-line block ×5, first 2 shown]
	v_add_co_u32_e32 v34, vcc, s8, v34
	v_add_u32_e32 v66, 0x500, v16
	s_nop 0
	v_addc_co_u32_e32 v35, vcc, 0, v35, vcc
	global_load_dword v64, v[34:35], off offset:672
	global_load_dword v65, v[34:35], off offset:1392
	ds_read2_b32 v[34:35], v16 offset1:180
	v_add_u32_e32 v67, 0xb00, v16
	v_add_u32_e32 v68, 0x1000, v16
	s_mov_b32 s8, 0xbb9c
	s_movk_i32 s11, 0x3b9c
	s_waitcnt lgkmcnt(0)
	v_lshrrev_b32_e32 v36, 16, v34
	v_lshrrev_b32_e32 v37, 16, v35
	s_mov_b32 s9, 0xb8b4
	s_movk_i32 s14, 0x38b4
	s_movk_i32 s10, 0x34f2
	s_waitcnt vmcnt(9)
	v_mul_f16_sdwa v54, v37, v33 dst_sel:DWORD dst_unused:UNUSED_PAD src0_sel:DWORD src1_sel:WORD_1
	v_mul_f16_sdwa v55, v35, v33 dst_sel:DWORD dst_unused:UNUSED_PAD src0_sel:DWORD src1_sel:WORD_1
	s_waitcnt vmcnt(7)
	v_mul_f16_sdwa v56, v36, v53 dst_sel:DWORD dst_unused:UNUSED_PAD src0_sel:DWORD src1_sel:WORD_1
	v_mul_f16_sdwa v57, v34, v53 dst_sel:DWORD dst_unused:UNUSED_PAD src0_sel:DWORD src1_sel:WORD_1
	v_fma_f16 v35, v35, v33, -v54
	v_fma_f16 v33, v37, v33, v55
	v_fma_f16 v34, v34, v53, -v56
	v_fma_f16 v36, v36, v53, v57
	v_pack_b32_f16 v33, v35, v33
	v_pack_b32_f16 v34, v34, v36
	ds_write2_b32 v16, v34, v33 offset1:180
	ds_read2_b32 v[34:35], v66 offset0:40 offset1:220
	v_add_u32_e32 v33, 0x1600, v16
	ds_read2_b32 v[36:37], v67 offset0:16 offset1:196
	ds_read2_b32 v[54:55], v68 offset0:56 offset1:236
	ds_read2_b32 v[56:57], v33 offset0:32 offset1:212
	s_waitcnt lgkmcnt(3)
	v_lshrrev_b32_e32 v53, 16, v34
	v_mul_f16_sdwa v69, v34, v58 dst_sel:DWORD dst_unused:UNUSED_PAD src0_sel:DWORD src1_sel:WORD_1
	v_lshrrev_b32_e32 v70, 16, v35
	s_waitcnt vmcnt(6)
	v_mul_f16_sdwa v71, v35, v59 dst_sel:DWORD dst_unused:UNUSED_PAD src0_sel:DWORD src1_sel:WORD_1
	s_waitcnt lgkmcnt(2)
	v_lshrrev_b32_e32 v72, 16, v36
	s_waitcnt vmcnt(5)
	v_mul_f16_sdwa v73, v36, v60 dst_sel:DWORD dst_unused:UNUSED_PAD src0_sel:DWORD src1_sel:WORD_1
	v_lshrrev_b32_e32 v74, 16, v37
	s_waitcnt vmcnt(2)
	v_mul_f16_sdwa v75, v37, v63 dst_sel:DWORD dst_unused:UNUSED_PAD src0_sel:DWORD src1_sel:WORD_1
	s_waitcnt lgkmcnt(1)
	v_lshrrev_b32_e32 v76, 16, v54
	v_mul_f16_sdwa v77, v54, v61 dst_sel:DWORD dst_unused:UNUSED_PAD src0_sel:DWORD src1_sel:WORD_1
	v_lshrrev_b32_e32 v78, 16, v55
	v_mul_f16_sdwa v81, v53, v58 dst_sel:DWORD dst_unused:UNUSED_PAD src0_sel:DWORD src1_sel:WORD_1
	v_fma_f16 v53, v53, v58, v69
	v_mul_f16_sdwa v69, v70, v59 dst_sel:DWORD dst_unused:UNUSED_PAD src0_sel:DWORD src1_sel:WORD_1
	v_mul_f16_sdwa v79, v55, v62 dst_sel:DWORD dst_unused:UNUSED_PAD src0_sel:DWORD src1_sel:WORD_1
	v_fma_f16 v70, v70, v59, v71
	v_mul_f16_sdwa v71, v72, v60 dst_sel:DWORD dst_unused:UNUSED_PAD src0_sel:DWORD src1_sel:WORD_1
	v_fma_f16 v72, v72, v60, v73
	;; [unrolled: 2-line block ×4, first 2 shown]
	v_mul_f16_sdwa v77, v78, v62 dst_sel:DWORD dst_unused:UNUSED_PAD src0_sel:DWORD src1_sel:WORD_1
	v_fma_f16 v34, v34, v58, -v81
	v_fma_f16 v35, v35, v59, -v69
	v_fma_f16 v78, v78, v62, v79
	v_fma_f16 v36, v36, v60, -v71
	v_fma_f16 v37, v37, v63, -v73
	;; [unrolled: 1-line block ×4, first 2 shown]
	v_pack_b32_f16 v34, v34, v53
	v_pack_b32_f16 v35, v35, v70
	s_waitcnt lgkmcnt(0)
	v_lshrrev_b32_e32 v80, 16, v56
	v_pack_b32_f16 v36, v36, v72
	v_pack_b32_f16 v37, v37, v74
	;; [unrolled: 1-line block ×4, first 2 shown]
	ds_write2_b32 v66, v34, v35 offset0:40 offset1:220
	ds_write2_b32 v67, v36, v37 offset0:16 offset1:196
	;; [unrolled: 1-line block ×3, first 2 shown]
	v_lshrrev_b32_e32 v35, 16, v57
	s_waitcnt vmcnt(1)
	v_mul_f16_sdwa v79, v80, v64 dst_sel:DWORD dst_unused:UNUSED_PAD src0_sel:DWORD src1_sel:WORD_1
	v_mul_f16_sdwa v34, v56, v64 dst_sel:DWORD dst_unused:UNUSED_PAD src0_sel:DWORD src1_sel:WORD_1
	s_waitcnt vmcnt(0)
	v_mul_f16_sdwa v36, v35, v65 dst_sel:DWORD dst_unused:UNUSED_PAD src0_sel:DWORD src1_sel:WORD_1
	v_mul_f16_sdwa v37, v57, v65 dst_sel:DWORD dst_unused:UNUSED_PAD src0_sel:DWORD src1_sel:WORD_1
	v_fma_f16 v58, v56, v64, -v79
	v_fma_f16 v34, v80, v64, v34
	v_fma_f16 v36, v57, v65, -v36
	v_fma_f16 v35, v35, v65, v37
	v_pack_b32_f16 v34, v58, v34
	v_pack_b32_f16 v35, v36, v35
	ds_write2_b32 v33, v34, v35 offset0:32 offset1:212
	s_waitcnt lgkmcnt(0)
	s_barrier
	ds_read2_b32 v[34:35], v16 offset1:180
	ds_read2_b32 v[36:37], v67 offset0:16 offset1:196
	ds_read2_b32 v[54:55], v68 offset0:56 offset1:236
	;; [unrolled: 1-line block ×4, first 2 shown]
	s_waitcnt lgkmcnt(0)
	s_barrier
	v_add_f16_e32 v33, v36, v54
	v_fma_f16 v33, v33, -0.5, v34
	v_sub_f16_sdwa v53, v56, v58 dst_sel:DWORD dst_unused:UNUSED_PAD src0_sel:WORD_1 src1_sel:WORD_1
	v_fma_f16 v60, v53, s8, v33
	v_sub_f16_sdwa v61, v36, v54 dst_sel:DWORD dst_unused:UNUSED_PAD src0_sel:WORD_1 src1_sel:WORD_1
	v_sub_f16_e32 v62, v58, v54
	v_sub_f16_e32 v63, v56, v36
	v_fma_f16 v33, v53, s11, v33
	v_fma_f16 v60, v61, s9, v60
	v_add_f16_e32 v62, v63, v62
	v_fma_f16 v33, v61, s14, v33
	v_fma_f16 v60, v62, s10, v60
	;; [unrolled: 1-line block ×3, first 2 shown]
	v_add_f16_e32 v33, v56, v58
	v_fma_f16 v33, v33, -0.5, v34
	v_fma_f16 v63, v61, s11, v33
	v_sub_f16_e32 v64, v54, v58
	v_sub_f16_e32 v65, v36, v56
	v_fma_f16 v33, v61, s8, v33
	v_add_f16_e32 v64, v65, v64
	v_fma_f16 v33, v53, s14, v33
	v_fma_f16 v63, v53, s9, v63
	v_fma_f16 v53, v64, s10, v33
	v_pk_add_f16 v33, v34, v56
	v_lshrrev_b32_e32 v34, 16, v34
	v_pk_add_f16 v33, v33, v36
	v_fma_f16 v63, v64, s10, v63
	v_pk_add_f16 v33, v33, v54
	v_sub_f16_e32 v64, v56, v58
	v_pk_add_f16 v61, v33, v58
	v_add_f16_sdwa v33, v36, v54 dst_sel:DWORD dst_unused:UNUSED_PAD src0_sel:WORD_1 src1_sel:WORD_1
	v_fma_f16 v33, v33, -0.5, v34
	v_fma_f16 v65, v64, s11, v33
	v_sub_f16_e32 v66, v36, v54
	v_sub_f16_sdwa v67, v56, v36 dst_sel:DWORD dst_unused:UNUSED_PAD src0_sel:WORD_1 src1_sel:WORD_1
	v_sub_f16_sdwa v68, v58, v54 dst_sel:DWORD dst_unused:UNUSED_PAD src0_sel:WORD_1 src1_sel:WORD_1
	v_fma_f16 v33, v64, s8, v33
	v_fma_f16 v65, v66, s14, v65
	v_add_f16_e32 v67, v67, v68
	v_fma_f16 v33, v66, s9, v33
	v_fma_f16 v65, v67, s10, v65
	;; [unrolled: 1-line block ×3, first 2 shown]
	v_add_f16_sdwa v33, v56, v58 dst_sel:DWORD dst_unused:UNUSED_PAD src0_sel:WORD_1 src1_sel:WORD_1
	v_fma_f16 v33, v33, -0.5, v34
	v_fma_f16 v34, v66, s8, v33
	v_sub_f16_sdwa v36, v36, v56 dst_sel:DWORD dst_unused:UNUSED_PAD src0_sel:WORD_1 src1_sel:WORD_1
	v_sub_f16_sdwa v54, v54, v58 dst_sel:DWORD dst_unused:UNUSED_PAD src0_sel:WORD_1 src1_sel:WORD_1
	v_fma_f16 v33, v66, s11, v33
	v_add_f16_e32 v36, v36, v54
	v_fma_f16 v33, v64, s9, v33
	v_fma_f16 v34, v64, s14, v34
	;; [unrolled: 1-line block ×3, first 2 shown]
	v_add_f16_e32 v33, v37, v55
	v_fma_f16 v54, v36, s10, v34
	v_fma_f16 v33, v33, -0.5, v35
	v_sub_f16_sdwa v34, v57, v59 dst_sel:DWORD dst_unused:UNUSED_PAD src0_sel:WORD_1 src1_sel:WORD_1
	v_fma_f16 v36, v34, s8, v33
	v_sub_f16_sdwa v56, v37, v55 dst_sel:DWORD dst_unused:UNUSED_PAD src0_sel:WORD_1 src1_sel:WORD_1
	v_sub_f16_e32 v64, v59, v55
	v_sub_f16_e32 v66, v57, v37
	v_fma_f16 v33, v34, s11, v33
	v_fma_f16 v36, v56, s9, v36
	v_add_f16_e32 v64, v66, v64
	v_fma_f16 v33, v56, s14, v33
	v_fma_f16 v36, v64, s10, v36
	;; [unrolled: 1-line block ×3, first 2 shown]
	v_add_f16_e32 v64, v57, v59
	v_fma_f16 v64, v64, -0.5, v35
	v_fma_f16 v66, v56, s11, v64
	v_fma_f16 v56, v56, s8, v64
	;; [unrolled: 1-line block ×4, first 2 shown]
	v_pk_add_f16 v56, v35, v57
	v_sub_f16_e32 v68, v55, v59
	v_pk_add_f16 v56, v56, v37
	v_sub_f16_e32 v69, v37, v57
	v_pk_add_f16 v56, v56, v55
	v_add_f16_e32 v68, v69, v68
	v_pk_add_f16 v64, v56, v59
	v_add_f16_sdwa v56, v37, v55 dst_sel:DWORD dst_unused:UNUSED_PAD src0_sel:WORD_1 src1_sel:WORD_1
	v_lshrrev_b32_e32 v35, 16, v35
	v_fma_f16 v66, v68, s10, v66
	v_fma_f16 v34, v68, s10, v34
	v_fma_f16 v56, v56, -0.5, v35
	v_sub_f16_e32 v68, v57, v59
	v_fma_f16 v69, v68, s11, v56
	v_sub_f16_e32 v70, v37, v55
	v_sub_f16_sdwa v71, v57, v37 dst_sel:DWORD dst_unused:UNUSED_PAD src0_sel:WORD_1 src1_sel:WORD_1
	v_sub_f16_sdwa v72, v59, v55 dst_sel:DWORD dst_unused:UNUSED_PAD src0_sel:WORD_1 src1_sel:WORD_1
	v_fma_f16 v56, v68, s8, v56
	v_fma_f16 v69, v70, s14, v69
	v_add_f16_e32 v71, v71, v72
	v_fma_f16 v56, v70, s9, v56
	v_fma_f16 v69, v71, s10, v69
	;; [unrolled: 1-line block ×3, first 2 shown]
	v_add_f16_sdwa v56, v57, v59 dst_sel:DWORD dst_unused:UNUSED_PAD src0_sel:WORD_1 src1_sel:WORD_1
	v_fma_f16 v35, v56, -0.5, v35
	v_fma_f16 v56, v70, s8, v35
	v_sub_f16_sdwa v37, v37, v57 dst_sel:DWORD dst_unused:UNUSED_PAD src0_sel:WORD_1 src1_sel:WORD_1
	v_sub_f16_sdwa v55, v55, v59 dst_sel:DWORD dst_unused:UNUSED_PAD src0_sel:WORD_1 src1_sel:WORD_1
	v_fma_f16 v35, v70, s11, v35
	v_fma_f16 v56, v68, s14, v56
	v_add_f16_e32 v37, v37, v55
	v_fma_f16 v35, v68, s9, v35
	v_fma_f16 v55, v37, s10, v56
	;; [unrolled: 1-line block ×3, first 2 shown]
	v_mul_f16_e32 v37, 0xb8b4, v69
	s_movk_i32 s8, 0x3a79
	v_fma_f16 v37, v36, s8, v37
	v_mul_f16_e32 v56, 0xbb9c, v55
	v_mul_f16_e32 v36, 0x38b4, v36
	v_fma_f16 v59, v66, s10, v56
	v_mul_f16_e32 v56, 0xbb9c, v35
	s_mov_b32 s9, 0xb4f2
	v_fma_f16 v69, v69, s8, v36
	v_mul_f16_e32 v36, 0x34f2, v55
	v_mul_f16_e32 v35, 0xb4f2, v35
	v_fma_f16 v70, v34, s9, v56
	v_mul_f16_e32 v56, 0xb8b4, v71
	s_mov_b32 s9, 0xba79
	v_fma_f16 v55, v66, s11, v36
	v_fma_f16 v76, v34, s11, v35
	v_mul_f16_e32 v34, 0xba79, v71
	v_add_f16_e32 v57, v60, v37
	v_add_f16_e32 v68, v63, v59
	;; [unrolled: 1-line block ×3, first 2 shown]
	v_fma_f16 v73, v33, s9, v56
	v_add_f16_e32 v75, v65, v69
	v_add_f16_e32 v66, v54, v55
	;; [unrolled: 1-line block ×3, first 2 shown]
	v_fma_f16 v71, v33, s14, v34
	v_add_f16_e32 v74, v62, v73
	v_pk_add_f16 v56, v61, v64
	v_add_f16_e32 v78, v67, v71
	v_sub_f16_e32 v33, v60, v37
	v_sub_f16_e32 v35, v63, v59
	;; [unrolled: 1-line block ×5, first 2 shown]
	v_pack_b32_f16 v59, v72, v77
	v_pack_b32_f16 v58, v68, v66
	;; [unrolled: 1-line block ×3, first 2 shown]
	v_sub_f16_e32 v36, v53, v70
	v_sub_f16_e32 v37, v62, v73
	;; [unrolled: 1-line block ×3, first 2 shown]
	ds_write2_b64 v46, v[56:57], v[58:59] offset1:1
	v_pk_add_f16 v57, v61, v64 neg_lo:[0,1] neg_hi:[0,1]
	v_pack_b32_f16 v59, v35, v55
	v_pack_b32_f16 v58, v33, v34
	;; [unrolled: 1-line block ×3, first 2 shown]
	ds_write2_b64 v46, v[56:57], v[58:59] offset0:2 offset1:3
	v_pack_b32_f16 v57, v37, v53
	v_pack_b32_f16 v56, v36, v54
	ds_write_b64 v46, v[56:57] offset:32
	s_waitcnt lgkmcnt(0)
	s_barrier
	ds_read_b32 v46, v16
	ds_read_b32 v60, v16 offset:1200
	ds_read_b32 v59, v16 offset:2400
	;; [unrolled: 1-line block ×5, first 2 shown]
	s_and_saveexec_b64 s[8:9], s[0:1]
	s_cbranch_execz .LBB0_11
; %bb.10:
	ds_read_b32 v33, v16 offset:720
	ds_read_b32 v35, v16 offset:1920
	;; [unrolled: 1-line block ×6, first 2 shown]
	s_waitcnt lgkmcnt(5)
	v_lshrrev_b32_e32 v34, 16, v33
	s_waitcnt lgkmcnt(4)
	v_lshrrev_b32_e32 v55, 16, v35
	;; [unrolled: 2-line block ×6, first 2 shown]
.LBB0_11:
	s_or_b64 exec, exec, s[8:9]
	s_waitcnt lgkmcnt(4)
	v_lshrrev_b32_e32 v62, 16, v60
	v_mul_f16_sdwa v67, v0, v62 dst_sel:DWORD dst_unused:UNUSED_PAD src0_sel:WORD_1 src1_sel:DWORD
	s_waitcnt lgkmcnt(3)
	v_lshrrev_b32_e32 v63, 16, v59
	v_fma_f16 v67, v0, v60, v67
	v_mul_f16_sdwa v60, v0, v60 dst_sel:DWORD dst_unused:UNUSED_PAD src0_sel:WORD_1 src1_sel:DWORD
	v_fma_f16 v60, v0, v62, -v60
	v_mul_f16_sdwa v0, v1, v63 dst_sel:DWORD dst_unused:UNUSED_PAD src0_sel:WORD_1 src1_sel:DWORD
	s_waitcnt lgkmcnt(2)
	v_lshrrev_b32_e32 v64, 16, v58
	v_fma_f16 v62, v1, v59, v0
	v_mul_f16_sdwa v0, v1, v59 dst_sel:DWORD dst_unused:UNUSED_PAD src0_sel:WORD_1 src1_sel:DWORD
	v_fma_f16 v59, v1, v63, -v0
	;; [unrolled: 6-line block ×4, first 2 shown]
	v_mul_f16_sdwa v0, v47, v66 dst_sel:DWORD dst_unused:UNUSED_PAD src0_sel:WORD_1 src1_sel:DWORD
	v_fma_f16 v65, v47, v56, v0
	v_mul_f16_sdwa v0, v47, v56 dst_sel:DWORD dst_unused:UNUSED_PAD src0_sel:WORD_1 src1_sel:DWORD
	v_mul_f16_sdwa v1, v4, v35 dst_sel:DWORD dst_unused:UNUSED_PAD src0_sel:WORD_1 src1_sel:DWORD
	v_fma_f16 v47, v47, v66, -v0
	v_mul_f16_sdwa v0, v4, v55 dst_sel:DWORD dst_unused:UNUSED_PAD src0_sel:WORD_1 src1_sel:DWORD
	v_fma_f16 v2, v4, v55, -v1
	v_mul_f16_sdwa v1, v5, v54 dst_sel:DWORD dst_unused:UNUSED_PAD src0_sel:WORD_1 src1_sel:DWORD
	v_mul_f16_sdwa v3, v5, v36 dst_sel:DWORD dst_unused:UNUSED_PAD src0_sel:WORD_1 src1_sel:DWORD
	v_fma_f16 v0, v4, v35, v0
	v_fma_f16 v1, v5, v36, v1
	v_fma_f16 v4, v5, v54, -v3
	v_mul_f16_sdwa v3, v6, v53 dst_sel:DWORD dst_unused:UNUSED_PAD src0_sel:WORD_1 src1_sel:DWORD
	v_mul_f16_sdwa v5, v6, v37 dst_sel:DWORD dst_unused:UNUSED_PAD src0_sel:WORD_1 src1_sel:DWORD
	v_fma_f16 v3, v6, v37, v3
	v_fma_f16 v6, v6, v53, -v5
	v_mul_f16_sdwa v5, v7, v32 dst_sel:DWORD dst_unused:UNUSED_PAD src0_sel:WORD_1 src1_sel:DWORD
	v_fma_f16 v5, v7, v19, v5
	v_mul_f16_sdwa v19, v7, v19 dst_sel:DWORD dst_unused:UNUSED_PAD src0_sel:WORD_1 src1_sel:DWORD
	v_add_f16_e32 v53, v63, v65
	v_fma_f16 v35, v7, v32, -v19
	v_mul_f16_sdwa v7, v48, v31 dst_sel:DWORD dst_unused:UNUSED_PAD src0_sel:WORD_1 src1_sel:DWORD
	s_mov_b32 s8, 0xbaee
	s_movk_i32 s9, 0x3aee
	v_fma_f16 v53, v53, -0.5, v67
	v_sub_f16_e32 v54, v58, v47
	v_fma_f16 v7, v48, v30, v7
	v_mul_f16_sdwa v19, v48, v30 dst_sel:DWORD dst_unused:UNUSED_PAD src0_sel:WORD_1 src1_sel:DWORD
	v_add_f16_e32 v30, v62, v64
	v_fma_f16 v55, v54, s8, v53
	v_fma_f16 v53, v54, s9, v53
	v_add_f16_e32 v54, v60, v58
	v_lshrrev_b32_e32 v61, 16, v46
	v_fma_f16 v36, v48, v31, -v19
	v_fma_f16 v30, v30, -0.5, v46
	v_sub_f16_e32 v31, v59, v57
	v_add_f16_e32 v37, v59, v57
	v_add_f16_e32 v54, v54, v47
	;; [unrolled: 1-line block ×4, first 2 shown]
	v_fma_f16 v32, v31, s8, v30
	v_fma_f16 v30, v31, s9, v30
	v_add_f16_e32 v31, v61, v59
	v_fma_f16 v37, v37, -0.5, v61
	v_sub_f16_e32 v46, v62, v64
	v_fma_f16 v47, v47, -0.5, v60
	v_sub_f16_e32 v56, v63, v65
	v_add_f16_e32 v31, v31, v57
	v_fma_f16 v48, v46, s9, v37
	v_fma_f16 v37, v46, s8, v37
	v_add_f16_e32 v46, v67, v63
	v_fma_f16 v57, v56, s9, v47
	v_fma_f16 v47, v56, s8, v47
	v_add_f16_e32 v19, v19, v64
	v_add_f16_e32 v46, v46, v65
	v_mul_f16_e32 v60, 0xbaee, v47
	v_add_f16_e32 v58, v19, v46
	v_fma_f16 v60, v53, -0.5, v60
	v_mul_f16_e32 v47, -0.5, v47
	v_sub_f16_e32 v64, v19, v46
	v_add_f16_e32 v19, v1, v5
	v_add_f16_e32 v61, v30, v60
	v_fma_f16 v47, v53, s9, v47
	v_sub_f16_e32 v60, v30, v60
	v_fma_f16 v19, v19, -0.5, v33
	v_sub_f16_e32 v30, v4, v35
	v_mul_f16_e32 v56, 0xbaee, v57
	v_mul_f16_e32 v57, 0.5, v57
	v_add_f16_e32 v63, v37, v47
	v_sub_f16_e32 v68, v37, v47
	v_fma_f16 v37, v30, s8, v19
	v_fma_f16 v46, v30, s9, v19
	v_add_f16_e32 v19, v4, v35
	v_fma_f16 v56, v55, 0.5, v56
	v_fma_f16 v55, v55, s9, v57
	v_fma_f16 v19, v19, -0.5, v34
	v_sub_f16_e32 v30, v1, v5
	v_add_f16_e32 v57, v48, v55
	v_sub_f16_e32 v67, v48, v55
	v_fma_f16 v47, v30, s9, v19
	v_fma_f16 v48, v30, s8, v19
	v_add_f16_e32 v19, v3, v7
	v_fma_f16 v19, v19, -0.5, v0
	v_sub_f16_e32 v30, v6, v36
	v_add_f16_e32 v62, v31, v54
	v_sub_f16_e32 v66, v31, v54
	v_fma_f16 v31, v30, s8, v19
	v_fma_f16 v19, v30, s9, v19
	v_add_f16_e32 v30, v6, v36
	v_add_f16_e32 v59, v32, v56
	v_sub_f16_e32 v65, v32, v56
	v_fma_f16 v30, v30, -0.5, v2
	v_sub_f16_e32 v32, v3, v7
	v_fma_f16 v55, v32, s9, v30
	v_fma_f16 v30, v32, s8, v30
	v_mul_f16_e32 v32, 0xbaee, v55
	v_fma_f16 v53, v31, 0.5, v32
	v_mul_f16_e32 v32, 0xbaee, v30
	v_fma_f16 v54, v19, -0.5, v32
	v_mul_f16_e32 v32, 0.5, v55
	v_mul_f16_e32 v30, -0.5, v30
	v_pack_b32_f16 v58, v58, v62
	v_pack_b32_f16 v57, v59, v57
	v_fma_f16 v55, v31, s9, v32
	v_fma_f16 v56, v19, s9, v30
	s_barrier
	ds_write2_b32 v50, v58, v57 offset1:10
	v_pack_b32_f16 v57, v61, v63
	v_pack_b32_f16 v58, v64, v66
	v_sub_f16_e32 v19, v37, v53
	v_sub_f16_e32 v30, v46, v54
	;; [unrolled: 1-line block ×4, first 2 shown]
	ds_write2_b32 v50, v57, v58 offset0:20 offset1:30
	v_pack_b32_f16 v57, v65, v67
	v_pack_b32_f16 v58, v60, v68
	ds_write2_b32 v50, v57, v58 offset0:40 offset1:50
	s_and_saveexec_b64 s[8:9], s[0:1]
	s_cbranch_execz .LBB0_13
; %bb.12:
	v_add_f16_e32 v4, v34, v4
	v_add_f16_e32 v2, v2, v6
	v_add_f16_e32 v1, v33, v1
	v_add_f16_e32 v0, v0, v3
	v_add_f16_e32 v4, v4, v35
	v_add_f16_e32 v2, v2, v36
	v_add_f16_e32 v1, v1, v5
	v_add_f16_e32 v0, v0, v7
	v_sub_f16_e32 v6, v4, v2
	v_sub_f16_e32 v3, v1, v0
	v_add_f16_e32 v7, v47, v55
	v_add_f16_e32 v2, v4, v2
	;; [unrolled: 1-line block ×6, first 2 shown]
	v_lshlrev_b32_e32 v1, 2, v49
	v_pack_b32_f16 v0, v0, v2
	v_pack_b32_f16 v2, v33, v7
	ds_write2_b32 v1, v0, v2 offset1:10
	v_pack_b32_f16 v0, v4, v5
	v_pack_b32_f16 v2, v3, v6
	s_mov_b32 s0, 0x5040100
	ds_write2_b32 v1, v0, v2 offset0:20 offset1:30
	v_perm_b32 v0, v31, v19, s0
	v_perm_b32 v2, v32, v30, s0
	ds_write2_b32 v1, v0, v2 offset0:40 offset1:50
.LBB0_13:
	s_or_b64 exec, exec, s[8:9]
	s_waitcnt lgkmcnt(0)
	s_barrier
	ds_read2_b32 v[0:1], v16 offset1:180
	v_add_u32_e32 v2, 0x500, v16
	ds_read2_b32 v[2:3], v2 offset0:40 offset1:220
	v_add_u32_e32 v4, 0xb00, v16
	ds_read2_b32 v[4:5], v4 offset0:16 offset1:196
	s_waitcnt lgkmcnt(2)
	v_lshrrev_b32_e32 v36, 16, v1
	v_mul_f16_sdwa v55, v8, v36 dst_sel:DWORD dst_unused:UNUSED_PAD src0_sel:WORD_1 src1_sel:DWORD
	s_waitcnt lgkmcnt(1)
	v_lshrrev_b32_e32 v37, 16, v2
	v_fma_f16 v55, v8, v1, v55
	v_mul_f16_sdwa v1, v8, v1 dst_sel:DWORD dst_unused:UNUSED_PAD src0_sel:WORD_1 src1_sel:DWORD
	v_fma_f16 v1, v8, v36, -v1
	v_mul_f16_sdwa v8, v9, v37 dst_sel:DWORD dst_unused:UNUSED_PAD src0_sel:WORD_1 src1_sel:DWORD
	v_lshrrev_b32_e32 v46, 16, v3
	v_add_u32_e32 v6, 0x1000, v16
	v_fma_f16 v8, v9, v2, v8
	v_mul_f16_sdwa v2, v9, v2 dst_sel:DWORD dst_unused:UNUSED_PAD src0_sel:WORD_1 src1_sel:DWORD
	ds_read2_b32 v[6:7], v6 offset0:56 offset1:236
	v_fma_f16 v2, v9, v37, -v2
	v_mul_f16_sdwa v9, v10, v46 dst_sel:DWORD dst_unused:UNUSED_PAD src0_sel:WORD_1 src1_sel:DWORD
	s_waitcnt lgkmcnt(1)
	v_lshrrev_b32_e32 v47, 16, v4
	v_fma_f16 v9, v10, v3, v9
	v_mul_f16_sdwa v3, v10, v3 dst_sel:DWORD dst_unused:UNUSED_PAD src0_sel:WORD_1 src1_sel:DWORD
	v_fma_f16 v3, v10, v46, -v3
	v_mul_f16_sdwa v10, v11, v47 dst_sel:DWORD dst_unused:UNUSED_PAD src0_sel:WORD_1 src1_sel:DWORD
	v_add_u32_e32 v34, 0x1600, v16
	v_lshrrev_b32_e32 v48, 16, v5
	v_fma_f16 v10, v11, v4, v10
	v_mul_f16_sdwa v4, v11, v4 dst_sel:DWORD dst_unused:UNUSED_PAD src0_sel:WORD_1 src1_sel:DWORD
	ds_read2_b32 v[34:35], v34 offset0:32 offset1:212
	v_fma_f16 v4, v11, v47, -v4
	v_mul_f16_sdwa v11, v12, v48 dst_sel:DWORD dst_unused:UNUSED_PAD src0_sel:WORD_1 src1_sel:DWORD
	s_waitcnt lgkmcnt(1)
	v_lshrrev_b32_e32 v49, 16, v6
	v_fma_f16 v11, v12, v5, v11
	v_mul_f16_sdwa v5, v12, v5 dst_sel:DWORD dst_unused:UNUSED_PAD src0_sel:WORD_1 src1_sel:DWORD
	v_fma_f16 v5, v12, v48, -v5
	v_mul_f16_sdwa v12, v13, v49 dst_sel:DWORD dst_unused:UNUSED_PAD src0_sel:WORD_1 src1_sel:DWORD
	v_lshrrev_b32_e32 v50, 16, v7
	v_fma_f16 v12, v13, v6, v12
	v_mul_f16_sdwa v6, v13, v6 dst_sel:DWORD dst_unused:UNUSED_PAD src0_sel:WORD_1 src1_sel:DWORD
	v_fma_f16 v6, v13, v49, -v6
	v_mul_f16_sdwa v13, v14, v50 dst_sel:DWORD dst_unused:UNUSED_PAD src0_sel:WORD_1 src1_sel:DWORD
	s_waitcnt lgkmcnt(0)
	v_lshrrev_b32_e32 v53, 16, v34
	v_fma_f16 v13, v14, v7, v13
	v_mul_f16_sdwa v7, v14, v7 dst_sel:DWORD dst_unused:UNUSED_PAD src0_sel:WORD_1 src1_sel:DWORD
	v_fma_f16 v7, v14, v50, -v7
	v_mul_f16_sdwa v14, v15, v53 dst_sel:DWORD dst_unused:UNUSED_PAD src0_sel:WORD_1 src1_sel:DWORD
	v_fma_f16 v14, v15, v34, v14
	v_mul_f16_sdwa v34, v15, v34 dst_sel:DWORD dst_unused:UNUSED_PAD src0_sel:WORD_1 src1_sel:DWORD
	v_fma_f16 v15, v15, v53, -v34
	v_add_f16_e32 v37, v10, v12
	v_fma_f16 v37, v37, -0.5, v0
	v_sub_f16_e32 v46, v2, v15
	s_mov_b32 s0, 0xbb9c
	s_movk_i32 s9, 0x3b9c
	v_fma_f16 v47, v46, s0, v37
	v_sub_f16_e32 v48, v4, v6
	s_mov_b32 s1, 0xb8b4
	v_sub_f16_e32 v49, v8, v10
	v_sub_f16_e32 v50, v14, v12
	v_fma_f16 v37, v46, s9, v37
	s_movk_i32 s10, 0x38b4
	v_fma_f16 v47, v48, s1, v47
	v_add_f16_e32 v49, v49, v50
	s_movk_i32 s8, 0x34f2
	v_fma_f16 v37, v48, s10, v37
	v_lshrrev_b32_e32 v54, 16, v35
	v_fma_f16 v47, v49, s8, v47
	v_fma_f16 v37, v49, s8, v37
	v_add_f16_e32 v49, v8, v14
	v_lshrrev_b32_e32 v33, 16, v0
	v_mul_f16_sdwa v34, v51, v54 dst_sel:DWORD dst_unused:UNUSED_PAD src0_sel:WORD_1 src1_sel:DWORD
	v_add_f16_e32 v36, v0, v8
	v_fma_f16 v0, v49, -0.5, v0
	v_fma_f16 v34, v51, v35, v34
	v_mul_f16_sdwa v35, v51, v35 dst_sel:DWORD dst_unused:UNUSED_PAD src0_sel:WORD_1 src1_sel:DWORD
	v_add_f16_e32 v36, v36, v10
	v_fma_f16 v49, v48, s9, v0
	v_fma_f16 v0, v48, s0, v0
	v_add_f16_e32 v48, v4, v6
	v_fma_f16 v35, v51, v54, -v35
	v_add_f16_e32 v36, v36, v12
	v_sub_f16_e32 v50, v10, v8
	v_sub_f16_e32 v51, v12, v14
	v_fma_f16 v48, v48, -0.5, v33
	v_sub_f16_e32 v8, v8, v14
	v_add_f16_e32 v36, v36, v14
	v_fma_f16 v49, v46, s1, v49
	v_add_f16_e32 v50, v50, v51
	v_fma_f16 v0, v46, s10, v0
	v_fma_f16 v14, v8, s9, v48
	v_sub_f16_e32 v10, v10, v12
	v_fma_f16 v49, v50, s8, v49
	v_fma_f16 v0, v50, s8, v0
	;; [unrolled: 1-line block ×3, first 2 shown]
	v_sub_f16_e32 v14, v2, v4
	v_sub_f16_e32 v50, v15, v6
	v_fma_f16 v48, v8, s0, v48
	v_add_f16_e32 v14, v14, v50
	v_fma_f16 v48, v10, s1, v48
	v_add_f16_e32 v46, v33, v2
	v_fma_f16 v12, v14, s8, v12
	v_fma_f16 v14, v14, s8, v48
	v_add_f16_e32 v48, v2, v15
	v_add_f16_e32 v46, v46, v4
	v_fma_f16 v33, v48, -0.5, v33
	v_add_f16_e32 v46, v46, v6
	v_fma_f16 v48, v10, s0, v33
	v_sub_f16_e32 v2, v4, v2
	v_sub_f16_e32 v4, v6, v15
	v_fma_f16 v6, v10, s9, v33
	v_fma_f16 v48, v8, s10, v48
	;; [unrolled: 1-line block ×3, first 2 shown]
	v_add_f16_e32 v8, v11, v13
	v_add_f16_e32 v2, v2, v4
	v_fma_f16 v8, v8, -0.5, v55
	v_sub_f16_e32 v10, v3, v35
	v_add_f16_e32 v46, v46, v15
	v_fma_f16 v4, v2, s8, v48
	v_fma_f16 v15, v10, s0, v8
	v_sub_f16_e32 v33, v5, v7
	v_sub_f16_e32 v48, v9, v11
	v_sub_f16_e32 v50, v34, v13
	v_fma_f16 v8, v10, s9, v8
	v_fma_f16 v15, v33, s1, v15
	v_add_f16_e32 v48, v48, v50
	v_fma_f16 v8, v33, s10, v8
	v_fma_f16 v15, v48, s8, v15
	;; [unrolled: 1-line block ×3, first 2 shown]
	v_add_f16_e32 v48, v9, v34
	v_fma_f16 v2, v2, s8, v6
	v_add_f16_e32 v6, v55, v9
	v_fma_f16 v48, v48, -0.5, v55
	v_add_f16_e32 v6, v6, v11
	v_fma_f16 v50, v33, s9, v48
	v_fma_f16 v33, v33, s0, v48
	v_add_f16_e32 v48, v5, v7
	v_add_f16_e32 v6, v6, v13
	v_sub_f16_e32 v51, v11, v9
	v_sub_f16_e32 v53, v13, v34
	v_fma_f16 v48, v48, -0.5, v1
	v_sub_f16_e32 v9, v9, v34
	v_add_f16_e32 v6, v6, v34
	v_fma_f16 v50, v10, s1, v50
	v_add_f16_e32 v51, v51, v53
	v_fma_f16 v10, v10, s10, v33
	v_fma_f16 v34, v9, s9, v48
	v_sub_f16_e32 v11, v11, v13
	v_fma_f16 v50, v51, s8, v50
	v_fma_f16 v10, v51, s8, v10
	v_fma_f16 v13, v11, s10, v34
	v_sub_f16_e32 v34, v3, v5
	v_sub_f16_e32 v51, v35, v7
	v_fma_f16 v48, v9, s0, v48
	v_add_f16_e32 v34, v34, v51
	v_fma_f16 v48, v11, s1, v48
	v_fma_f16 v13, v34, s8, v13
	;; [unrolled: 1-line block ×3, first 2 shown]
	v_add_f16_e32 v48, v3, v35
	v_add_f16_e32 v33, v1, v3
	v_fma_f16 v1, v48, -0.5, v1
	v_add_f16_e32 v33, v33, v5
	v_fma_f16 v48, v11, s0, v1
	v_sub_f16_e32 v3, v5, v3
	v_sub_f16_e32 v5, v7, v35
	v_fma_f16 v1, v11, s9, v1
	v_fma_f16 v48, v9, s10, v48
	v_add_f16_e32 v3, v3, v5
	v_fma_f16 v1, v9, s1, v1
	v_add_f16_e32 v33, v33, v7
	v_fma_f16 v5, v3, s8, v48
	v_fma_f16 v1, v3, s8, v1
	v_mul_f16_e32 v7, 0xb8b4, v13
	s_movk_i32 s0, 0x3a79
	v_mul_f16_e32 v13, 0x3a79, v13
	v_add_f16_e32 v33, v33, v35
	v_fma_f16 v7, v15, s0, v7
	v_mul_f16_e32 v9, 0xbb9c, v5
	v_mul_f16_e32 v48, 0xbb9c, v1
	s_mov_b32 s0, 0xb4f2
	v_fma_f16 v13, v15, s10, v13
	v_mul_f16_e32 v5, 0x34f2, v5
	v_mul_f16_e32 v1, 0xb4f2, v1
	v_add_f16_e32 v3, v36, v6
	v_add_f16_e32 v11, v47, v7
	v_fma_f16 v9, v50, s8, v9
	v_fma_f16 v48, v10, s0, v48
	v_mul_f16_e32 v53, 0xb8b4, v34
	s_mov_b32 s0, 0xba79
	v_add_f16_e32 v55, v46, v33
	v_add_f16_e32 v15, v12, v13
	v_fma_f16 v5, v50, s9, v5
	v_fma_f16 v1, v10, s9, v1
	v_mul_f16_e32 v34, 0xba79, v34
	v_add_f16_e32 v35, v49, v9
	v_add_f16_e32 v51, v0, v48
	v_fma_f16 v53, v8, s0, v53
	v_add_f16_e32 v50, v4, v5
	v_add_f16_e32 v10, v2, v1
	v_fma_f16 v34, v8, s10, v34
	v_sub_f16_e32 v1, v2, v1
	v_pack_b32_f16 v2, v3, v55
	v_pack_b32_f16 v3, v11, v15
	v_add_f16_e32 v54, v37, v53
	v_add_f16_e32 v56, v14, v34
	v_sub_f16_e32 v6, v36, v6
	v_sub_f16_e32 v33, v46, v33
	s_barrier
	ds_write2_b32 v52, v2, v3 offset1:60
	v_pack_b32_f16 v2, v35, v50
	v_pack_b32_f16 v3, v51, v10
	v_sub_f16_e32 v7, v47, v7
	v_sub_f16_e32 v36, v49, v9
	;; [unrolled: 1-line block ×4, first 2 shown]
	ds_write2_b32 v52, v2, v3 offset0:120 offset1:180
	v_pack_b32_f16 v2, v54, v56
	v_pack_b32_f16 v3, v6, v33
	v_add_u32_e32 v5, 0x200, v52
	v_sub_f16_e32 v0, v0, v48
	v_sub_f16_e32 v8, v37, v53
	;; [unrolled: 1-line block ×3, first 2 shown]
	ds_write2_b32 v5, v2, v3 offset0:112 offset1:172
	v_pack_b32_f16 v2, v7, v12
	v_pack_b32_f16 v3, v36, v4
	v_add_u32_e32 v4, 0x400, v52
	ds_write2_b32 v4, v2, v3 offset0:104 offset1:164
	v_pack_b32_f16 v0, v0, v1
	v_pack_b32_f16 v1, v8, v9
	v_add_u32_e32 v2, 0x600, v52
	ds_write2_b32 v2, v0, v1 offset0:96 offset1:156
	v_add_u32_e32 v0, 0x580, v16
	v_add_u32_e32 v4, 0x1200, v16
	;; [unrolled: 1-line block ×3, first 2 shown]
	s_waitcnt lgkmcnt(0)
	s_barrier
	ds_read2_b32 v[2:3], v16 offset1:180
	ds_read2_b32 v[0:1], v0 offset0:8 offset1:248
	ds_read2_b32 v[6:7], v4 offset0:48 offset1:228
	ds_read2_b32 v[4:5], v10 offset0:12 offset1:192
	ds_read_b32 v11, v16 offset:6240
	s_and_saveexec_b64 s[0:1], s[2:3]
	s_cbranch_execz .LBB0_15
; %bb.14:
	ds_read_b32 v8, v16 offset:2160
	ds_read_b32 v19, v16 offset:4560
	;; [unrolled: 1-line block ×3, first 2 shown]
	s_waitcnt lgkmcnt(2)
	v_lshrrev_b32_e32 v9, 16, v8
	s_waitcnt lgkmcnt(1)
	v_lshrrev_b32_e32 v31, 16, v19
	;; [unrolled: 2-line block ×3, first 2 shown]
.LBB0_15:
	s_or_b64 exec, exec, s[0:1]
	s_waitcnt lgkmcnt(3)
	v_lshrrev_b32_e32 v13, 16, v1
	v_mul_f16_sdwa v46, v24, v13 dst_sel:DWORD dst_unused:UNUSED_PAD src0_sel:WORD_1 src1_sel:DWORD
	s_waitcnt lgkmcnt(2)
	v_lshrrev_b32_e32 v14, 16, v6
	v_fma_f16 v46, v24, v1, v46
	v_mul_f16_sdwa v1, v24, v1 dst_sel:DWORD dst_unused:UNUSED_PAD src0_sel:WORD_1 src1_sel:DWORD
	v_fma_f16 v1, v24, v13, -v1
	v_mul_f16_sdwa v13, v25, v14 dst_sel:DWORD dst_unused:UNUSED_PAD src0_sel:WORD_1 src1_sel:DWORD
	s_waitcnt lgkmcnt(1)
	v_lshrrev_b32_e32 v33, 16, v4
	v_lshrrev_b32_e32 v36, 16, v5
	v_fma_f16 v13, v25, v6, v13
	v_mul_f16_sdwa v6, v25, v6 dst_sel:DWORD dst_unused:UNUSED_PAD src0_sel:WORD_1 src1_sel:DWORD
	v_lshrrev_b32_e32 v34, 16, v7
	v_fma_f16 v6, v25, v14, -v6
	v_mul_f16_sdwa v14, v26, v33 dst_sel:DWORD dst_unused:UNUSED_PAD src0_sel:WORD_1 src1_sel:DWORD
	v_mul_f16_sdwa v25, v28, v36 dst_sel:DWORD dst_unused:UNUSED_PAD src0_sel:WORD_1 src1_sel:DWORD
	s_waitcnt lgkmcnt(0)
	v_lshrrev_b32_e32 v37, 16, v11
	v_fma_f16 v14, v26, v4, v14
	v_mul_f16_sdwa v4, v26, v4 dst_sel:DWORD dst_unused:UNUSED_PAD src0_sel:WORD_1 src1_sel:DWORD
	v_mul_f16_sdwa v24, v27, v34 dst_sel:DWORD dst_unused:UNUSED_PAD src0_sel:WORD_1 src1_sel:DWORD
	v_fma_f16 v25, v28, v5, v25
	v_mul_f16_sdwa v5, v28, v5 dst_sel:DWORD dst_unused:UNUSED_PAD src0_sel:WORD_1 src1_sel:DWORD
	v_fma_f16 v4, v26, v33, -v4
	v_fma_f16 v24, v27, v7, v24
	v_mul_f16_sdwa v7, v27, v7 dst_sel:DWORD dst_unused:UNUSED_PAD src0_sel:WORD_1 src1_sel:DWORD
	v_fma_f16 v5, v28, v36, -v5
	v_mul_f16_sdwa v26, v29, v37 dst_sel:DWORD dst_unused:UNUSED_PAD src0_sel:WORD_1 src1_sel:DWORD
	v_add_f16_e32 v28, v46, v13
	v_lshrrev_b32_e32 v12, 16, v2
	v_fma_f16 v7, v27, v34, -v7
	v_fma_f16 v26, v29, v11, v26
	v_mul_f16_sdwa v11, v29, v11 dst_sel:DWORD dst_unused:UNUSED_PAD src0_sel:WORD_1 src1_sel:DWORD
	v_add_f16_e32 v27, v2, v46
	v_fma_f16 v2, v28, -0.5, v2
	v_sub_f16_e32 v28, v1, v6
	s_mov_b32 s8, 0xbaee
	s_movk_i32 s9, 0x3aee
	v_fma_f16 v11, v29, v37, -v11
	v_fma_f16 v29, v28, s8, v2
	v_fma_f16 v2, v28, s9, v2
	v_add_f16_e32 v28, v12, v1
	v_add_f16_e32 v1, v1, v6
	;; [unrolled: 1-line block ×4, first 2 shown]
	v_fma_f16 v1, v1, -0.5, v12
	v_sub_f16_e32 v6, v46, v13
	v_add_f16_e32 v13, v14, v24
	v_lshrrev_b32_e32 v15, 16, v3
	v_fma_f16 v12, v6, s9, v1
	v_fma_f16 v1, v6, s8, v1
	v_add_f16_e32 v6, v3, v14
	v_fma_f16 v3, v13, -0.5, v3
	v_sub_f16_e32 v13, v4, v7
	v_fma_f16 v33, v13, s8, v3
	v_fma_f16 v3, v13, s9, v3
	v_add_f16_e32 v13, v15, v4
	v_add_f16_e32 v4, v4, v7
	;; [unrolled: 1-line block ×3, first 2 shown]
	v_fma_f16 v4, v4, -0.5, v15
	v_sub_f16_e32 v7, v14, v24
	v_add_f16_e32 v15, v25, v26
	v_lshrrev_b32_e32 v35, 16, v0
	v_fma_f16 v14, v7, s9, v4
	v_fma_f16 v4, v7, s8, v4
	v_add_f16_e32 v7, v0, v25
	v_fma_f16 v0, v15, -0.5, v0
	v_sub_f16_e32 v15, v5, v11
	v_add_f16_e32 v6, v6, v24
	v_fma_f16 v24, v15, s8, v0
	v_fma_f16 v0, v15, s9, v0
	v_add_f16_e32 v15, v35, v5
	v_add_f16_e32 v5, v5, v11
	;; [unrolled: 1-line block ×3, first 2 shown]
	v_fma_f16 v5, v5, -0.5, v35
	v_sub_f16_e32 v11, v25, v26
	v_pack_b32_f16 v1, v2, v1
	v_add_f16_e32 v7, v7, v26
	v_fma_f16 v25, v11, s9, v5
	v_fma_f16 v5, v11, s8, v5
	v_pack_b32_f16 v11, v27, v28
	v_pack_b32_f16 v12, v29, v12
	ds_write_b32 v16, v1 offset:4800
	v_pack_b32_f16 v1, v6, v13
	v_pack_b32_f16 v2, v3, v4
	ds_write_b32 v16, v12 offset:2400
	ds_write2_b32 v16, v11, v1 offset1:180
	ds_write_b32 v16, v2 offset:5520
	v_pack_b32_f16 v2, v7, v15
	v_pack_b32_f16 v1, v33, v14
	ds_write_b32 v16, v2 offset:1440
	v_pack_b32_f16 v2, v24, v25
	v_pack_b32_f16 v0, v0, v5
	ds_write2_b32 v10, v1, v2 offset0:12 offset1:192
	ds_write_b32 v16, v0 offset:6240
	s_and_saveexec_b64 s[0:1], s[2:3]
	s_cbranch_execz .LBB0_17
; %bb.16:
	v_mul_f16_sdwa v0, v22, v19 dst_sel:DWORD dst_unused:UNUSED_PAD src0_sel:WORD_1 src1_sel:DWORD
	v_mul_f16_sdwa v1, v23, v30 dst_sel:DWORD dst_unused:UNUSED_PAD src0_sel:WORD_1 src1_sel:DWORD
	v_fma_f16 v0, v22, v31, -v0
	v_fma_f16 v1, v23, v32, -v1
	v_mul_f16_sdwa v3, v22, v31 dst_sel:DWORD dst_unused:UNUSED_PAD src0_sel:WORD_1 src1_sel:DWORD
	v_mul_f16_sdwa v4, v23, v32 dst_sel:DWORD dst_unused:UNUSED_PAD src0_sel:WORD_1 src1_sel:DWORD
	v_add_f16_e32 v2, v0, v1
	v_fma_f16 v3, v22, v19, v3
	v_fma_f16 v4, v23, v30, v4
	v_fma_f16 v2, v2, -0.5, v9
	v_sub_f16_e32 v5, v3, v4
	v_add_f16_e32 v7, v3, v4
	v_fma_f16 v6, v5, s8, v2
	v_fma_f16 v2, v5, s9, v2
	v_add_f16_e32 v5, v9, v0
	v_fma_f16 v7, v7, -0.5, v8
	v_sub_f16_e32 v0, v0, v1
	v_add_f16_e32 v5, v5, v1
	v_fma_f16 v1, v0, s9, v7
	v_fma_f16 v0, v0, s8, v7
	v_add_f16_e32 v3, v8, v3
	v_add_f16_e32 v3, v3, v4
	v_pack_b32_f16 v0, v0, v2
	v_pack_b32_f16 v3, v3, v5
	ds_write_b32 v16, v0 offset:4560
	v_pack_b32_f16 v0, v1, v6
	ds_write_b32 v16, v3 offset:2160
	ds_write_b32 v16, v0 offset:6960
.LBB0_17:
	s_or_b64 exec, exec, s[0:1]
	s_waitcnt lgkmcnt(0)
	s_barrier
	ds_read2_b32 v[4:5], v16 offset1:180
	v_mad_u64_u32 v[6:7], s[0:1], s6, v20, 0
	v_mov_b32_e32 v0, v7
	s_mov_b32 s2, 0x789abcdf
	s_waitcnt lgkmcnt(0)
	v_lshrrev_b32_e32 v8, 16, v4
	v_mul_f16_sdwa v1, v45, v8 dst_sel:DWORD dst_unused:UNUSED_PAD src0_sel:WORD_1 src1_sel:DWORD
	v_fma_f16 v1, v45, v4, v1
	v_cvt_f32_f16_e32 v9, v1
	v_mad_u64_u32 v[0:1], s[0:1], s7, v20, v[0:1]
	v_mov_b32_e32 v7, v0
	v_cvt_f64_f32_e32 v[0:1], v9
	s_mov_b32 s3, 0x3f423456
	v_mul_f64 v[0:1], v[0:1], s[2:3]
	s_movk_i32 s6, 0x1ff
	v_and_or_b32 v0, v1, s6, v0
	v_cmp_ne_u32_e32 vcc, 0, v0
	v_lshrrev_b32_e32 v9, 8, v1
	s_movk_i32 s7, 0xffe
	v_cndmask_b32_e64 v0, 0, 1, vcc
	v_bfe_u32 v10, v1, 20, 11
	v_and_or_b32 v9, v9, s7, v0
	v_sub_u32_e32 v11, 0x3f1, v10
	v_or_b32_e32 v0, 0x1000, v9
	v_med3_i32 v11, v11, 0, 13
	v_lshrrev_b32_e32 v12, v11, v0
	v_lshlrev_b32_e32 v11, v11, v12
	v_cmp_ne_u32_e32 vcc, v11, v0
	v_add_u32_e32 v10, 0xfffffc10, v10
	v_lshl_or_b32 v11, v10, 12, v9
	v_cndmask_b32_e64 v0, 0, 1, vcc
	v_or_b32_e32 v0, v12, v0
	v_cmp_gt_i32_e32 vcc, 1, v10
	v_mul_f16_sdwa v4, v45, v4 dst_sel:DWORD dst_unused:UNUSED_PAD src0_sel:WORD_1 src1_sel:DWORD
	v_fma_f16 v4, v45, v8, -v4
	v_cndmask_b32_e32 v0, v11, v0, vcc
	v_and_b32_e32 v11, 7, v0
	v_cmp_lt_i32_e32 vcc, 5, v11
	v_cmp_eq_u32_e64 s[0:1], 3, v11
	v_lshrrev_b32_e32 v0, 2, v0
	s_or_b64 vcc, s[0:1], vcc
	v_addc_co_u32_e32 v11, vcc, 0, v0, vcc
	v_mov_b32_e32 v0, 0x7c00
	v_cmp_gt_i32_e32 vcc, 31, v10
	v_cvt_f32_f16_e32 v4, v4
	s_movk_i32 s8, 0x40f
	v_cndmask_b32_e32 v11, v0, v11, vcc
	v_cmp_ne_u32_e32 vcc, 0, v9
	s_mov_b32 s9, 0x8000
	v_mov_b32_e32 v2, s12
	v_cndmask_b32_e64 v9, 0, 1, vcc
	v_lshl_or_b32 v9, v9, 9, v0
	v_cmp_eq_u32_e32 vcc, s8, v10
	v_mov_b32_e32 v3, s13
	v_and_b32_sdwa v1, v1, s9 dst_sel:DWORD dst_unused:UNUSED_PAD src0_sel:WORD_1 src1_sel:DWORD
	v_cndmask_b32_e32 v12, v11, v9, vcc
	v_cvt_f64_f32_e32 v[8:9], v4
	v_mul_f64 v[8:9], v[8:9], s[2:3]
	v_and_or_b32 v4, v9, s6, v8
	v_cmp_ne_u32_e32 vcc, 0, v4
	v_lshrrev_b32_e32 v8, 8, v9
	v_bfe_u32 v10, v9, 20, 11
	v_cndmask_b32_e64 v4, 0, 1, vcc
	v_and_or_b32 v4, v8, s7, v4
	v_sub_u32_e32 v11, 0x3f1, v10
	v_or_b32_e32 v8, 0x1000, v4
	v_med3_i32 v11, v11, 0, 13
	v_lshrrev_b32_e32 v13, v11, v8
	v_lshlrev_b32_e32 v11, v11, v13
	v_cmp_ne_u32_e32 vcc, v11, v8
	v_add_u32_e32 v10, 0xfffffc10, v10
	v_lshl_or_b32 v11, v10, 12, v4
	v_cndmask_b32_e64 v8, 0, 1, vcc
	v_or_b32_e32 v8, v13, v8
	v_cmp_gt_i32_e32 vcc, 1, v10
	s_mov_b32 s10, 0xffff
	v_bitop3_b32 v1, v1, s10, v12 bitop3:0xc8
	v_cndmask_b32_e32 v8, v11, v8, vcc
	v_and_b32_e32 v11, 7, v8
	v_cmp_lt_i32_e32 vcc, 5, v11
	v_cmp_eq_u32_e64 s[0:1], 3, v11
	v_lshrrev_b32_e32 v8, 2, v8
	s_or_b64 vcc, s[0:1], vcc
	v_addc_co_u32_e32 v8, vcc, 0, v8, vcc
	v_cmp_gt_i32_e32 vcc, 31, v10
	v_lshl_add_u64 v[2:3], v[6:7], 2, v[2:3]
	s_nop 0
	v_cndmask_b32_e32 v8, v0, v8, vcc
	v_cmp_ne_u32_e32 vcc, 0, v4
	s_nop 1
	v_cndmask_b32_e64 v4, 0, 1, vcc
	v_lshl_or_b32 v4, v4, 9, v0
	v_cmp_eq_u32_e32 vcc, s8, v10
	s_nop 1
	v_cndmask_b32_e32 v4, v8, v4, vcc
	v_lshrrev_b32_e32 v8, 16, v9
	v_and_or_b32 v13, v8, s9, v4
	v_mad_u64_u32 v[8:9], s[0:1], s4, v18, 0
	v_mov_b32_e32 v4, v9
	v_mad_u64_u32 v[10:11], s[0:1], s5, v18, v[4:5]
	v_lshrrev_b32_e32 v4, 16, v5
	v_mov_b32_e32 v9, v10
	v_mul_f16_sdwa v10, v44, v4 dst_sel:DWORD dst_unused:UNUSED_PAD src0_sel:WORD_1 src1_sel:DWORD
	v_fma_f16 v10, v44, v5, v10
	v_cvt_f32_f16_e32 v10, v10
	v_lshl_or_b32 v1, v13, 16, v1
	v_lshl_add_u64 v[2:3], v[8:9], 2, v[2:3]
	global_store_dword v[2:3], v1, off
	v_cvt_f64_f32_e32 v[6:7], v10
	v_mul_f64 v[6:7], v[6:7], s[2:3]
	v_and_or_b32 v1, v7, s6, v6
	v_cmp_ne_u32_e32 vcc, 0, v1
	v_lshrrev_b32_e32 v6, 8, v7
	v_bfe_u32 v8, v7, 20, 11
	v_cndmask_b32_e64 v1, 0, 1, vcc
	v_and_or_b32 v1, v6, s7, v1
	v_sub_u32_e32 v9, 0x3f1, v8
	v_or_b32_e32 v6, 0x1000, v1
	v_med3_i32 v9, v9, 0, 13
	v_lshrrev_b32_e32 v10, v9, v6
	v_lshlrev_b32_e32 v9, v9, v10
	v_cmp_ne_u32_e32 vcc, v9, v6
	v_add_u32_e32 v8, 0xfffffc10, v8
	v_lshl_or_b32 v9, v8, 12, v1
	v_cndmask_b32_e64 v6, 0, 1, vcc
	v_or_b32_e32 v6, v10, v6
	v_cmp_gt_i32_e32 vcc, 1, v8
	v_mul_f16_sdwa v5, v44, v5 dst_sel:DWORD dst_unused:UNUSED_PAD src0_sel:WORD_1 src1_sel:DWORD
	v_fma_f16 v4, v44, v4, -v5
	v_cndmask_b32_e32 v6, v9, v6, vcc
	v_and_b32_e32 v9, 7, v6
	v_cmp_lt_i32_e32 vcc, 5, v9
	v_cmp_eq_u32_e64 s[0:1], 3, v9
	v_cvt_f32_f16_e32 v4, v4
	v_lshrrev_b32_e32 v6, 2, v6
	s_or_b64 vcc, s[0:1], vcc
	v_addc_co_u32_e32 v6, vcc, 0, v6, vcc
	v_cmp_gt_i32_e32 vcc, 31, v8
	v_cvt_f64_f32_e32 v[4:5], v4
	v_mul_f64 v[4:5], v[4:5], s[2:3]
	v_cndmask_b32_e32 v6, v0, v6, vcc
	v_cmp_ne_u32_e32 vcc, 0, v1
	v_and_or_b32 v4, v5, s6, v4
	s_mulk_i32 s5, 0x2d0
	v_cndmask_b32_e64 v1, 0, 1, vcc
	v_lshl_or_b32 v1, v1, 9, v0
	v_cmp_eq_u32_e32 vcc, s8, v8
	v_bfe_u32 v8, v5, 20, 11
	v_sub_u32_e32 v9, 0x3f1, v8
	v_cndmask_b32_e32 v1, v6, v1, vcc
	v_cmp_ne_u32_e32 vcc, 0, v4
	v_and_b32_sdwa v6, v7, s9 dst_sel:DWORD dst_unused:UNUSED_PAD src0_sel:WORD_1 src1_sel:DWORD
	v_lshrrev_b32_e32 v7, 8, v5
	v_cndmask_b32_e64 v4, 0, 1, vcc
	v_and_or_b32 v4, v7, s7, v4
	v_or_b32_e32 v7, 0x1000, v4
	v_med3_i32 v9, v9, 0, 13
	v_lshrrev_b32_e32 v10, v9, v7
	v_lshlrev_b32_e32 v9, v9, v10
	v_cmp_ne_u32_e32 vcc, v9, v7
	v_add_u32_e32 v8, 0xfffffc10, v8
	v_lshl_or_b32 v9, v8, 12, v4
	v_cndmask_b32_e64 v7, 0, 1, vcc
	v_or_b32_e32 v7, v10, v7
	v_cmp_gt_i32_e32 vcc, 1, v8
	v_lshrrev_b32_e32 v5, 16, v5
	v_bitop3_b32 v1, v6, s10, v1 bitop3:0xc8
	v_cndmask_b32_e32 v7, v9, v7, vcc
	v_and_b32_e32 v9, 7, v7
	v_cmp_lt_i32_e32 vcc, 5, v9
	v_cmp_eq_u32_e64 s[0:1], 3, v9
	v_lshrrev_b32_e32 v7, 2, v7
	s_or_b64 vcc, s[0:1], vcc
	v_addc_co_u32_e32 v7, vcc, 0, v7, vcc
	v_cmp_gt_i32_e32 vcc, 31, v8
	s_nop 1
	v_cndmask_b32_e32 v7, v0, v7, vcc
	v_cmp_ne_u32_e32 vcc, 0, v4
	s_nop 1
	v_cndmask_b32_e64 v4, 0, 1, vcc
	v_lshl_or_b32 v4, v4, 9, v0
	v_cmp_eq_u32_e32 vcc, s8, v8
	s_nop 1
	v_cndmask_b32_e32 v4, v7, v4, vcc
	v_and_or_b32 v7, v5, s9, v4
	v_add_u32_e32 v4, 0x500, v16
	ds_read2_b32 v[4:5], v4 offset0:40 offset1:220
	v_lshl_or_b32 v6, v7, 16, v1
	v_mov_b32_e32 v1, 0x2d0
	v_mad_u64_u32 v[2:3], s[0:1], s4, v1, v[2:3]
	s_waitcnt lgkmcnt(0)
	v_lshrrev_b32_e32 v8, 16, v4
	v_mul_f16_sdwa v7, v43, v8 dst_sel:DWORD dst_unused:UNUSED_PAD src0_sel:WORD_1 src1_sel:DWORD
	v_fma_f16 v7, v43, v4, v7
	v_cvt_f32_f16_e32 v7, v7
	v_add_u32_e32 v3, s5, v3
	global_store_dword v[2:3], v6, off
	v_mul_f16_sdwa v4, v43, v4 dst_sel:DWORD dst_unused:UNUSED_PAD src0_sel:WORD_1 src1_sel:DWORD
	v_cvt_f64_f32_e32 v[6:7], v7
	v_mul_f64 v[6:7], v[6:7], s[2:3]
	v_and_or_b32 v6, v7, s6, v6
	v_cmp_ne_u32_e32 vcc, 0, v6
	v_lshrrev_b32_e32 v9, 8, v7
	v_bfe_u32 v10, v7, 20, 11
	v_cndmask_b32_e64 v6, 0, 1, vcc
	v_and_or_b32 v6, v9, s7, v6
	v_sub_u32_e32 v11, 0x3f1, v10
	v_or_b32_e32 v9, 0x1000, v6
	v_med3_i32 v11, v11, 0, 13
	v_lshrrev_b32_e32 v12, v11, v9
	v_lshlrev_b32_e32 v11, v11, v12
	v_cmp_ne_u32_e32 vcc, v11, v9
	v_add_u32_e32 v10, 0xfffffc10, v10
	v_lshl_or_b32 v11, v10, 12, v6
	v_cndmask_b32_e64 v9, 0, 1, vcc
	v_or_b32_e32 v9, v12, v9
	v_cmp_gt_i32_e32 vcc, 1, v10
	v_fma_f16 v4, v43, v8, -v4
	v_cvt_f32_f16_e32 v4, v4
	v_cndmask_b32_e32 v9, v11, v9, vcc
	v_and_b32_e32 v11, 7, v9
	v_cmp_lt_i32_e32 vcc, 5, v11
	v_cmp_eq_u32_e64 s[0:1], 3, v11
	v_lshrrev_b32_e32 v9, 2, v9
	s_or_b64 vcc, s[0:1], vcc
	v_addc_co_u32_e32 v9, vcc, 0, v9, vcc
	v_cmp_gt_i32_e32 vcc, 31, v10
	s_nop 1
	v_cndmask_b32_e32 v9, v0, v9, vcc
	v_cmp_ne_u32_e32 vcc, 0, v6
	s_nop 1
	v_cndmask_b32_e64 v6, 0, 1, vcc
	v_lshl_or_b32 v6, v6, 9, v0
	v_cmp_eq_u32_e32 vcc, s8, v10
	s_nop 1
	v_cndmask_b32_e32 v8, v9, v6, vcc
	v_and_b32_sdwa v9, v7, s9 dst_sel:DWORD dst_unused:UNUSED_PAD src0_sel:WORD_1 src1_sel:DWORD
	v_cvt_f64_f32_e32 v[6:7], v4
	v_mul_f64 v[6:7], v[6:7], s[2:3]
	v_and_or_b32 v4, v7, s6, v6
	v_cmp_ne_u32_e32 vcc, 0, v4
	v_lshrrev_b32_e32 v6, 8, v7
	v_bfe_u32 v10, v7, 20, 11
	v_cndmask_b32_e64 v4, 0, 1, vcc
	v_and_or_b32 v4, v6, s7, v4
	v_sub_u32_e32 v11, 0x3f1, v10
	v_or_b32_e32 v6, 0x1000, v4
	v_med3_i32 v11, v11, 0, 13
	v_lshrrev_b32_e32 v12, v11, v6
	v_lshlrev_b32_e32 v11, v11, v12
	v_cmp_ne_u32_e32 vcc, v11, v6
	v_add_u32_e32 v10, 0xfffffc10, v10
	v_lshl_or_b32 v11, v10, 12, v4
	v_cndmask_b32_e64 v6, 0, 1, vcc
	v_or_b32_e32 v6, v12, v6
	v_cmp_gt_i32_e32 vcc, 1, v10
	s_nop 1
	v_cndmask_b32_e32 v6, v11, v6, vcc
	v_and_b32_e32 v11, 7, v6
	v_cmp_lt_i32_e32 vcc, 5, v11
	v_cmp_eq_u32_e64 s[0:1], 3, v11
	v_lshrrev_b32_e32 v6, 2, v6
	s_or_b64 vcc, s[0:1], vcc
	v_addc_co_u32_e32 v6, vcc, 0, v6, vcc
	v_cmp_gt_i32_e32 vcc, 31, v10
	v_mad_u64_u32 v[2:3], s[0:1], s4, v1, v[2:3]
	s_nop 0
	v_cndmask_b32_e32 v6, v0, v6, vcc
	v_cmp_ne_u32_e32 vcc, 0, v4
	v_add_u32_e32 v3, s5, v3
	s_nop 0
	v_cndmask_b32_e64 v4, 0, 1, vcc
	v_lshl_or_b32 v4, v4, 9, v0
	v_cmp_eq_u32_e32 vcc, s8, v10
	s_nop 1
	v_cndmask_b32_e32 v4, v6, v4, vcc
	v_lshrrev_b32_e32 v6, 16, v7
	v_and_or_b32 v4, v6, s9, v4
	v_bitop3_b32 v6, v9, s10, v8 bitop3:0xc8
	v_lshrrev_b32_e32 v8, 16, v5
	v_lshl_or_b32 v4, v4, 16, v6
	v_mul_f16_sdwa v6, v42, v8 dst_sel:DWORD dst_unused:UNUSED_PAD src0_sel:WORD_1 src1_sel:DWORD
	v_fma_f16 v6, v42, v5, v6
	v_cvt_f32_f16_e32 v6, v6
	global_store_dword v[2:3], v4, off
	v_mul_f16_sdwa v5, v42, v5 dst_sel:DWORD dst_unused:UNUSED_PAD src0_sel:WORD_1 src1_sel:DWORD
	v_fma_f16 v5, v42, v8, -v5
	v_cvt_f64_f32_e32 v[6:7], v6
	v_mul_f64 v[6:7], v[6:7], s[2:3]
	v_and_or_b32 v4, v7, s6, v6
	v_cmp_ne_u32_e32 vcc, 0, v4
	v_lshrrev_b32_e32 v6, 8, v7
	v_bfe_u32 v9, v7, 20, 11
	v_cndmask_b32_e64 v4, 0, 1, vcc
	v_and_or_b32 v4, v6, s7, v4
	v_sub_u32_e32 v10, 0x3f1, v9
	v_or_b32_e32 v6, 0x1000, v4
	v_med3_i32 v10, v10, 0, 13
	v_lshrrev_b32_e32 v11, v10, v6
	v_lshlrev_b32_e32 v10, v10, v11
	v_cmp_ne_u32_e32 vcc, v10, v6
	v_add_u32_e32 v9, 0xfffffc10, v9
	v_lshl_or_b32 v10, v9, 12, v4
	v_cndmask_b32_e64 v6, 0, 1, vcc
	v_or_b32_e32 v6, v11, v6
	v_cmp_gt_i32_e32 vcc, 1, v9
	v_cvt_f32_f16_e32 v5, v5
	s_nop 0
	v_cndmask_b32_e32 v6, v10, v6, vcc
	v_and_b32_e32 v10, 7, v6
	v_cmp_lt_i32_e32 vcc, 5, v10
	v_cmp_eq_u32_e64 s[0:1], 3, v10
	v_lshrrev_b32_e32 v6, 2, v6
	s_or_b64 vcc, s[0:1], vcc
	v_addc_co_u32_e32 v6, vcc, 0, v6, vcc
	v_cmp_gt_i32_e32 vcc, 31, v9
	s_nop 1
	v_cndmask_b32_e32 v6, v0, v6, vcc
	v_cmp_ne_u32_e32 vcc, 0, v4
	s_nop 1
	v_cndmask_b32_e64 v4, 0, 1, vcc
	v_lshl_or_b32 v4, v4, 9, v0
	v_cmp_eq_u32_e32 vcc, s8, v9
	v_and_b32_sdwa v9, v7, s9 dst_sel:DWORD dst_unused:UNUSED_PAD src0_sel:WORD_1 src1_sel:DWORD
	s_nop 0
	v_cndmask_b32_e32 v8, v6, v4, vcc
	v_cvt_f64_f32_e32 v[4:5], v5
	v_mul_f64 v[4:5], v[4:5], s[2:3]
	v_and_or_b32 v4, v5, s6, v4
	v_cmp_ne_u32_e32 vcc, 0, v4
	v_lshrrev_b32_e32 v6, 8, v5
	v_bfe_u32 v7, v5, 20, 11
	v_cndmask_b32_e64 v4, 0, 1, vcc
	v_and_or_b32 v4, v6, s7, v4
	v_sub_u32_e32 v10, 0x3f1, v7
	v_or_b32_e32 v6, 0x1000, v4
	v_med3_i32 v10, v10, 0, 13
	v_lshrrev_b32_e32 v11, v10, v6
	v_lshlrev_b32_e32 v10, v10, v11
	v_cmp_ne_u32_e32 vcc, v10, v6
	v_add_u32_e32 v7, 0xfffffc10, v7
	v_lshl_or_b32 v10, v7, 12, v4
	v_cndmask_b32_e64 v6, 0, 1, vcc
	v_or_b32_e32 v6, v11, v6
	v_cmp_gt_i32_e32 vcc, 1, v7
	v_lshrrev_b32_e32 v5, 16, v5
	s_nop 0
	v_cndmask_b32_e32 v6, v10, v6, vcc
	v_and_b32_e32 v10, 7, v6
	v_cmp_lt_i32_e32 vcc, 5, v10
	v_cmp_eq_u32_e64 s[0:1], 3, v10
	v_lshrrev_b32_e32 v6, 2, v6
	s_or_b64 vcc, s[0:1], vcc
	v_addc_co_u32_e32 v6, vcc, 0, v6, vcc
	v_cmp_gt_i32_e32 vcc, 31, v7
	v_mad_u64_u32 v[2:3], s[0:1], s4, v1, v[2:3]
	s_nop 0
	v_cndmask_b32_e32 v6, v0, v6, vcc
	v_cmp_ne_u32_e32 vcc, 0, v4
	v_add_u32_e32 v3, s5, v3
	s_nop 0
	v_cndmask_b32_e64 v4, 0, 1, vcc
	v_lshl_or_b32 v4, v4, 9, v0
	v_cmp_eq_u32_e32 vcc, s8, v7
	s_nop 1
	v_cndmask_b32_e32 v4, v6, v4, vcc
	v_add_u32_e32 v6, 0xb00, v16
	ds_read2_b32 v[6:7], v6 offset0:16 offset1:196
	v_and_or_b32 v4, v5, s9, v4
	v_bitop3_b32 v5, v9, s10, v8 bitop3:0xc8
	v_lshl_or_b32 v4, v4, 16, v5
	global_store_dword v[2:3], v4, off
	s_waitcnt lgkmcnt(0)
	v_lshrrev_b32_e32 v8, 16, v6
	v_mul_f16_sdwa v5, v41, v8 dst_sel:DWORD dst_unused:UNUSED_PAD src0_sel:WORD_1 src1_sel:DWORD
	v_fma_f16 v5, v41, v6, v5
	v_cvt_f32_f16_e32 v5, v5
	v_mul_f16_sdwa v6, v41, v6 dst_sel:DWORD dst_unused:UNUSED_PAD src0_sel:WORD_1 src1_sel:DWORD
	v_fma_f16 v6, v41, v8, -v6
	v_cvt_f32_f16_e32 v6, v6
	v_cvt_f64_f32_e32 v[4:5], v5
	v_mul_f64 v[4:5], v[4:5], s[2:3]
	v_and_or_b32 v4, v5, s6, v4
	v_cmp_ne_u32_e32 vcc, 0, v4
	v_lshrrev_b32_e32 v9, 8, v5
	v_bfe_u32 v10, v5, 20, 11
	v_cndmask_b32_e64 v4, 0, 1, vcc
	v_and_or_b32 v4, v9, s7, v4
	v_sub_u32_e32 v11, 0x3f1, v10
	v_or_b32_e32 v9, 0x1000, v4
	v_med3_i32 v11, v11, 0, 13
	v_lshrrev_b32_e32 v12, v11, v9
	v_lshlrev_b32_e32 v11, v11, v12
	v_cmp_ne_u32_e32 vcc, v11, v9
	v_add_u32_e32 v10, 0xfffffc10, v10
	v_lshl_or_b32 v11, v10, 12, v4
	v_cndmask_b32_e64 v9, 0, 1, vcc
	v_or_b32_e32 v9, v12, v9
	v_cmp_gt_i32_e32 vcc, 1, v10
	s_nop 1
	v_cndmask_b32_e32 v9, v11, v9, vcc
	v_and_b32_e32 v11, 7, v9
	v_cmp_lt_i32_e32 vcc, 5, v11
	v_cmp_eq_u32_e64 s[0:1], 3, v11
	v_lshrrev_b32_e32 v9, 2, v9
	s_or_b64 vcc, s[0:1], vcc
	v_addc_co_u32_e32 v9, vcc, 0, v9, vcc
	v_cmp_gt_i32_e32 vcc, 31, v10
	s_nop 1
	v_cndmask_b32_e32 v9, v0, v9, vcc
	v_cmp_ne_u32_e32 vcc, 0, v4
	s_nop 1
	v_cndmask_b32_e64 v4, 0, 1, vcc
	v_lshl_or_b32 v4, v4, 9, v0
	v_cmp_eq_u32_e32 vcc, s8, v10
	s_nop 1
	v_cndmask_b32_e32 v8, v9, v4, vcc
	v_and_b32_sdwa v9, v5, s9 dst_sel:DWORD dst_unused:UNUSED_PAD src0_sel:WORD_1 src1_sel:DWORD
	v_cvt_f64_f32_e32 v[4:5], v6
	v_mul_f64 v[4:5], v[4:5], s[2:3]
	v_and_or_b32 v4, v5, s6, v4
	v_cmp_ne_u32_e32 vcc, 0, v4
	v_lshrrev_b32_e32 v6, 8, v5
	v_bfe_u32 v10, v5, 20, 11
	v_cndmask_b32_e64 v4, 0, 1, vcc
	v_and_or_b32 v4, v6, s7, v4
	v_sub_u32_e32 v11, 0x3f1, v10
	v_or_b32_e32 v6, 0x1000, v4
	v_med3_i32 v11, v11, 0, 13
	v_lshrrev_b32_e32 v12, v11, v6
	v_lshlrev_b32_e32 v11, v11, v12
	v_cmp_ne_u32_e32 vcc, v11, v6
	v_add_u32_e32 v10, 0xfffffc10, v10
	v_lshl_or_b32 v11, v10, 12, v4
	v_cndmask_b32_e64 v6, 0, 1, vcc
	v_or_b32_e32 v6, v12, v6
	v_cmp_gt_i32_e32 vcc, 1, v10
	v_lshrrev_b32_e32 v5, 16, v5
	s_nop 0
	v_cndmask_b32_e32 v6, v11, v6, vcc
	v_and_b32_e32 v11, 7, v6
	v_cmp_lt_i32_e32 vcc, 5, v11
	v_cmp_eq_u32_e64 s[0:1], 3, v11
	v_lshrrev_b32_e32 v6, 2, v6
	s_or_b64 vcc, s[0:1], vcc
	v_addc_co_u32_e32 v6, vcc, 0, v6, vcc
	v_cmp_gt_i32_e32 vcc, 31, v10
	v_mad_u64_u32 v[2:3], s[0:1], s4, v1, v[2:3]
	s_nop 0
	v_cndmask_b32_e32 v6, v0, v6, vcc
	v_cmp_ne_u32_e32 vcc, 0, v4
	v_add_u32_e32 v3, s5, v3
	s_nop 0
	v_cndmask_b32_e64 v4, 0, 1, vcc
	v_lshl_or_b32 v4, v4, 9, v0
	v_cmp_eq_u32_e32 vcc, s8, v10
	s_nop 1
	v_cndmask_b32_e32 v4, v6, v4, vcc
	v_and_or_b32 v4, v5, s9, v4
	v_bitop3_b32 v5, v9, s10, v8 bitop3:0xc8
	v_lshrrev_b32_e32 v6, 16, v7
	v_lshl_or_b32 v4, v4, 16, v5
	v_mul_f16_sdwa v5, v40, v6 dst_sel:DWORD dst_unused:UNUSED_PAD src0_sel:WORD_1 src1_sel:DWORD
	v_fma_f16 v5, v40, v7, v5
	v_cvt_f32_f16_e32 v5, v5
	global_store_dword v[2:3], v4, off
	v_mul_f16_sdwa v7, v40, v7 dst_sel:DWORD dst_unused:UNUSED_PAD src0_sel:WORD_1 src1_sel:DWORD
	v_fma_f16 v6, v40, v6, -v7
	v_cvt_f64_f32_e32 v[4:5], v5
	v_mul_f64 v[4:5], v[4:5], s[2:3]
	v_and_or_b32 v4, v5, s6, v4
	v_cmp_ne_u32_e32 vcc, 0, v4
	v_lshrrev_b32_e32 v8, 8, v5
	v_bfe_u32 v9, v5, 20, 11
	v_cndmask_b32_e64 v4, 0, 1, vcc
	v_and_or_b32 v4, v8, s7, v4
	v_sub_u32_e32 v10, 0x3f1, v9
	v_or_b32_e32 v8, 0x1000, v4
	v_med3_i32 v10, v10, 0, 13
	v_lshrrev_b32_e32 v11, v10, v8
	v_lshlrev_b32_e32 v10, v10, v11
	v_cmp_ne_u32_e32 vcc, v10, v8
	v_add_u32_e32 v9, 0xfffffc10, v9
	v_lshl_or_b32 v10, v9, 12, v4
	v_cndmask_b32_e64 v8, 0, 1, vcc
	v_or_b32_e32 v8, v11, v8
	v_cmp_gt_i32_e32 vcc, 1, v9
	v_cvt_f32_f16_e32 v6, v6
	s_nop 0
	v_cndmask_b32_e32 v8, v10, v8, vcc
	v_and_b32_e32 v10, 7, v8
	v_cmp_lt_i32_e32 vcc, 5, v10
	v_cmp_eq_u32_e64 s[0:1], 3, v10
	v_lshrrev_b32_e32 v8, 2, v8
	s_or_b64 vcc, s[0:1], vcc
	v_addc_co_u32_e32 v8, vcc, 0, v8, vcc
	v_cmp_gt_i32_e32 vcc, 31, v9
	s_nop 1
	v_cndmask_b32_e32 v8, v0, v8, vcc
	v_cmp_ne_u32_e32 vcc, 0, v4
	s_nop 1
	v_cndmask_b32_e64 v4, 0, 1, vcc
	v_lshl_or_b32 v4, v4, 9, v0
	v_cmp_eq_u32_e32 vcc, s8, v9
	v_and_b32_sdwa v9, v5, s9 dst_sel:DWORD dst_unused:UNUSED_PAD src0_sel:WORD_1 src1_sel:DWORD
	s_nop 0
	v_cndmask_b32_e32 v8, v8, v4, vcc
	v_cvt_f64_f32_e32 v[4:5], v6
	v_mul_f64 v[4:5], v[4:5], s[2:3]
	v_and_or_b32 v4, v5, s6, v4
	v_cmp_ne_u32_e32 vcc, 0, v4
	v_lshrrev_b32_e32 v6, 8, v5
	v_bfe_u32 v7, v5, 20, 11
	v_cndmask_b32_e64 v4, 0, 1, vcc
	v_and_or_b32 v4, v6, s7, v4
	v_sub_u32_e32 v10, 0x3f1, v7
	v_or_b32_e32 v6, 0x1000, v4
	v_med3_i32 v10, v10, 0, 13
	v_lshrrev_b32_e32 v11, v10, v6
	v_lshlrev_b32_e32 v10, v10, v11
	v_cmp_ne_u32_e32 vcc, v10, v6
	v_add_u32_e32 v7, 0xfffffc10, v7
	v_lshl_or_b32 v10, v7, 12, v4
	v_cndmask_b32_e64 v6, 0, 1, vcc
	v_or_b32_e32 v6, v11, v6
	v_cmp_gt_i32_e32 vcc, 1, v7
	v_lshrrev_b32_e32 v5, 16, v5
	s_nop 0
	v_cndmask_b32_e32 v6, v10, v6, vcc
	v_and_b32_e32 v10, 7, v6
	v_cmp_lt_i32_e32 vcc, 5, v10
	v_cmp_eq_u32_e64 s[0:1], 3, v10
	v_lshrrev_b32_e32 v6, 2, v6
	s_or_b64 vcc, s[0:1], vcc
	v_addc_co_u32_e32 v6, vcc, 0, v6, vcc
	v_cmp_gt_i32_e32 vcc, 31, v7
	v_mad_u64_u32 v[2:3], s[0:1], s4, v1, v[2:3]
	s_nop 0
	v_cndmask_b32_e32 v6, v0, v6, vcc
	v_cmp_ne_u32_e32 vcc, 0, v4
	v_add_u32_e32 v3, s5, v3
	s_nop 0
	v_cndmask_b32_e64 v4, 0, 1, vcc
	v_lshl_or_b32 v4, v4, 9, v0
	v_cmp_eq_u32_e32 vcc, s8, v7
	s_nop 1
	v_cndmask_b32_e32 v4, v6, v4, vcc
	v_add_u32_e32 v6, 0x1000, v16
	ds_read2_b32 v[6:7], v6 offset0:56 offset1:236
	v_and_or_b32 v4, v5, s9, v4
	v_bitop3_b32 v5, v9, s10, v8 bitop3:0xc8
	v_lshl_or_b32 v4, v4, 16, v5
	global_store_dword v[2:3], v4, off
	s_waitcnt lgkmcnt(0)
	v_lshrrev_b32_e32 v8, 16, v6
	v_mul_f16_sdwa v5, v39, v8 dst_sel:DWORD dst_unused:UNUSED_PAD src0_sel:WORD_1 src1_sel:DWORD
	v_fma_f16 v5, v39, v6, v5
	v_cvt_f32_f16_e32 v5, v5
	v_mul_f16_sdwa v6, v39, v6 dst_sel:DWORD dst_unused:UNUSED_PAD src0_sel:WORD_1 src1_sel:DWORD
	v_fma_f16 v6, v39, v8, -v6
	v_cvt_f32_f16_e32 v6, v6
	v_cvt_f64_f32_e32 v[4:5], v5
	v_mul_f64 v[4:5], v[4:5], s[2:3]
	v_and_or_b32 v4, v5, s6, v4
	v_cmp_ne_u32_e32 vcc, 0, v4
	v_lshrrev_b32_e32 v9, 8, v5
	v_bfe_u32 v10, v5, 20, 11
	v_cndmask_b32_e64 v4, 0, 1, vcc
	v_and_or_b32 v4, v9, s7, v4
	v_sub_u32_e32 v11, 0x3f1, v10
	v_or_b32_e32 v9, 0x1000, v4
	v_med3_i32 v11, v11, 0, 13
	v_lshrrev_b32_e32 v12, v11, v9
	v_lshlrev_b32_e32 v11, v11, v12
	v_cmp_ne_u32_e32 vcc, v11, v9
	v_add_u32_e32 v10, 0xfffffc10, v10
	v_lshl_or_b32 v11, v10, 12, v4
	v_cndmask_b32_e64 v9, 0, 1, vcc
	v_or_b32_e32 v9, v12, v9
	v_cmp_gt_i32_e32 vcc, 1, v10
	s_nop 1
	v_cndmask_b32_e32 v9, v11, v9, vcc
	v_and_b32_e32 v11, 7, v9
	v_cmp_lt_i32_e32 vcc, 5, v11
	v_cmp_eq_u32_e64 s[0:1], 3, v11
	v_lshrrev_b32_e32 v9, 2, v9
	s_or_b64 vcc, s[0:1], vcc
	v_addc_co_u32_e32 v9, vcc, 0, v9, vcc
	v_cmp_gt_i32_e32 vcc, 31, v10
	s_nop 1
	v_cndmask_b32_e32 v9, v0, v9, vcc
	v_cmp_ne_u32_e32 vcc, 0, v4
	s_nop 1
	v_cndmask_b32_e64 v4, 0, 1, vcc
	v_lshl_or_b32 v4, v4, 9, v0
	v_cmp_eq_u32_e32 vcc, s8, v10
	s_nop 1
	v_cndmask_b32_e32 v8, v9, v4, vcc
	v_and_b32_sdwa v9, v5, s9 dst_sel:DWORD dst_unused:UNUSED_PAD src0_sel:WORD_1 src1_sel:DWORD
	v_cvt_f64_f32_e32 v[4:5], v6
	v_mul_f64 v[4:5], v[4:5], s[2:3]
	v_and_or_b32 v4, v5, s6, v4
	v_cmp_ne_u32_e32 vcc, 0, v4
	v_lshrrev_b32_e32 v6, 8, v5
	v_bfe_u32 v10, v5, 20, 11
	v_cndmask_b32_e64 v4, 0, 1, vcc
	v_and_or_b32 v4, v6, s7, v4
	v_sub_u32_e32 v11, 0x3f1, v10
	v_or_b32_e32 v6, 0x1000, v4
	v_med3_i32 v11, v11, 0, 13
	v_lshrrev_b32_e32 v12, v11, v6
	v_lshlrev_b32_e32 v11, v11, v12
	v_cmp_ne_u32_e32 vcc, v11, v6
	v_add_u32_e32 v10, 0xfffffc10, v10
	v_lshl_or_b32 v11, v10, 12, v4
	v_cndmask_b32_e64 v6, 0, 1, vcc
	v_or_b32_e32 v6, v12, v6
	v_cmp_gt_i32_e32 vcc, 1, v10
	v_lshrrev_b32_e32 v5, 16, v5
	s_nop 0
	v_cndmask_b32_e32 v6, v11, v6, vcc
	v_and_b32_e32 v11, 7, v6
	v_cmp_lt_i32_e32 vcc, 5, v11
	v_cmp_eq_u32_e64 s[0:1], 3, v11
	v_lshrrev_b32_e32 v6, 2, v6
	s_or_b64 vcc, s[0:1], vcc
	v_addc_co_u32_e32 v6, vcc, 0, v6, vcc
	v_cmp_gt_i32_e32 vcc, 31, v10
	v_mad_u64_u32 v[2:3], s[0:1], s4, v1, v[2:3]
	s_nop 0
	v_cndmask_b32_e32 v6, v0, v6, vcc
	v_cmp_ne_u32_e32 vcc, 0, v4
	v_add_u32_e32 v3, s5, v3
	s_nop 0
	v_cndmask_b32_e64 v4, 0, 1, vcc
	v_lshl_or_b32 v4, v4, 9, v0
	v_cmp_eq_u32_e32 vcc, s8, v10
	s_nop 1
	v_cndmask_b32_e32 v4, v6, v4, vcc
	v_and_or_b32 v4, v5, s9, v4
	v_bitop3_b32 v5, v9, s10, v8 bitop3:0xc8
	v_lshrrev_b32_e32 v6, 16, v7
	v_lshl_or_b32 v4, v4, 16, v5
	v_mul_f16_sdwa v5, v38, v6 dst_sel:DWORD dst_unused:UNUSED_PAD src0_sel:WORD_1 src1_sel:DWORD
	v_fma_f16 v5, v38, v7, v5
	v_cvt_f32_f16_e32 v5, v5
	global_store_dword v[2:3], v4, off
	v_mul_f16_sdwa v7, v38, v7 dst_sel:DWORD dst_unused:UNUSED_PAD src0_sel:WORD_1 src1_sel:DWORD
	v_fma_f16 v6, v38, v6, -v7
	v_cvt_f64_f32_e32 v[4:5], v5
	v_mul_f64 v[4:5], v[4:5], s[2:3]
	v_and_or_b32 v4, v5, s6, v4
	v_cmp_ne_u32_e32 vcc, 0, v4
	v_lshrrev_b32_e32 v8, 8, v5
	v_bfe_u32 v9, v5, 20, 11
	v_cndmask_b32_e64 v4, 0, 1, vcc
	v_and_or_b32 v4, v8, s7, v4
	v_sub_u32_e32 v10, 0x3f1, v9
	v_or_b32_e32 v8, 0x1000, v4
	v_med3_i32 v10, v10, 0, 13
	v_lshrrev_b32_e32 v11, v10, v8
	v_lshlrev_b32_e32 v10, v10, v11
	v_cmp_ne_u32_e32 vcc, v10, v8
	v_add_u32_e32 v9, 0xfffffc10, v9
	v_lshl_or_b32 v10, v9, 12, v4
	v_cndmask_b32_e64 v8, 0, 1, vcc
	v_or_b32_e32 v8, v11, v8
	v_cmp_gt_i32_e32 vcc, 1, v9
	v_cvt_f32_f16_e32 v6, v6
	s_nop 0
	v_cndmask_b32_e32 v8, v10, v8, vcc
	v_and_b32_e32 v10, 7, v8
	v_cmp_lt_i32_e32 vcc, 5, v10
	v_cmp_eq_u32_e64 s[0:1], 3, v10
	v_lshrrev_b32_e32 v8, 2, v8
	s_or_b64 vcc, s[0:1], vcc
	v_addc_co_u32_e32 v8, vcc, 0, v8, vcc
	v_cmp_gt_i32_e32 vcc, 31, v9
	s_nop 1
	v_cndmask_b32_e32 v8, v0, v8, vcc
	v_cmp_ne_u32_e32 vcc, 0, v4
	s_nop 1
	v_cndmask_b32_e64 v4, 0, 1, vcc
	v_lshl_or_b32 v4, v4, 9, v0
	v_cmp_eq_u32_e32 vcc, s8, v9
	v_and_b32_sdwa v9, v5, s9 dst_sel:DWORD dst_unused:UNUSED_PAD src0_sel:WORD_1 src1_sel:DWORD
	s_nop 0
	v_cndmask_b32_e32 v8, v8, v4, vcc
	v_cvt_f64_f32_e32 v[4:5], v6
	v_mul_f64 v[4:5], v[4:5], s[2:3]
	v_and_or_b32 v4, v5, s6, v4
	v_cmp_ne_u32_e32 vcc, 0, v4
	v_lshrrev_b32_e32 v6, 8, v5
	v_bfe_u32 v7, v5, 20, 11
	v_cndmask_b32_e64 v4, 0, 1, vcc
	v_and_or_b32 v4, v6, s7, v4
	v_sub_u32_e32 v10, 0x3f1, v7
	v_or_b32_e32 v6, 0x1000, v4
	v_med3_i32 v10, v10, 0, 13
	v_lshrrev_b32_e32 v11, v10, v6
	v_lshlrev_b32_e32 v10, v10, v11
	v_cmp_ne_u32_e32 vcc, v10, v6
	v_add_u32_e32 v7, 0xfffffc10, v7
	v_lshl_or_b32 v10, v7, 12, v4
	v_cndmask_b32_e64 v6, 0, 1, vcc
	v_or_b32_e32 v6, v11, v6
	v_cmp_gt_i32_e32 vcc, 1, v7
	v_lshrrev_b32_e32 v5, 16, v5
	s_nop 0
	v_cndmask_b32_e32 v6, v10, v6, vcc
	v_and_b32_e32 v10, 7, v6
	v_cmp_lt_i32_e32 vcc, 5, v10
	v_cmp_eq_u32_e64 s[0:1], 3, v10
	v_lshrrev_b32_e32 v6, 2, v6
	s_or_b64 vcc, s[0:1], vcc
	v_addc_co_u32_e32 v6, vcc, 0, v6, vcc
	v_cmp_gt_i32_e32 vcc, 31, v7
	v_mad_u64_u32 v[2:3], s[0:1], s4, v1, v[2:3]
	s_nop 0
	v_cndmask_b32_e32 v6, v0, v6, vcc
	v_cmp_ne_u32_e32 vcc, 0, v4
	v_add_u32_e32 v3, s5, v3
	s_nop 0
	v_cndmask_b32_e64 v4, 0, 1, vcc
	v_lshl_or_b32 v4, v4, 9, v0
	v_cmp_eq_u32_e32 vcc, s8, v7
	s_nop 1
	v_cndmask_b32_e32 v4, v6, v4, vcc
	v_add_u32_e32 v6, 0x1600, v16
	ds_read2_b32 v[6:7], v6 offset0:32 offset1:212
	v_and_or_b32 v4, v5, s9, v4
	v_bitop3_b32 v5, v9, s10, v8 bitop3:0xc8
	v_lshl_or_b32 v4, v4, 16, v5
	global_store_dword v[2:3], v4, off
	s_waitcnt lgkmcnt(0)
	v_lshrrev_b32_e32 v8, 16, v6
	v_mul_f16_sdwa v5, v21, v8 dst_sel:DWORD dst_unused:UNUSED_PAD src0_sel:WORD_1 src1_sel:DWORD
	v_fma_f16 v5, v21, v6, v5
	v_cvt_f32_f16_e32 v5, v5
	v_mul_f16_sdwa v6, v21, v6 dst_sel:DWORD dst_unused:UNUSED_PAD src0_sel:WORD_1 src1_sel:DWORD
	v_fma_f16 v6, v21, v8, -v6
	v_cvt_f32_f16_e32 v6, v6
	v_cvt_f64_f32_e32 v[4:5], v5
	v_mul_f64 v[4:5], v[4:5], s[2:3]
	v_and_or_b32 v4, v5, s6, v4
	v_cmp_ne_u32_e32 vcc, 0, v4
	v_lshrrev_b32_e32 v9, 8, v5
	v_bfe_u32 v10, v5, 20, 11
	v_cndmask_b32_e64 v4, 0, 1, vcc
	v_and_or_b32 v4, v9, s7, v4
	v_sub_u32_e32 v11, 0x3f1, v10
	v_or_b32_e32 v9, 0x1000, v4
	v_med3_i32 v11, v11, 0, 13
	v_lshrrev_b32_e32 v12, v11, v9
	v_lshlrev_b32_e32 v11, v11, v12
	v_cmp_ne_u32_e32 vcc, v11, v9
	v_add_u32_e32 v10, 0xfffffc10, v10
	v_lshl_or_b32 v11, v10, 12, v4
	v_cndmask_b32_e64 v9, 0, 1, vcc
	v_or_b32_e32 v9, v12, v9
	v_cmp_gt_i32_e32 vcc, 1, v10
	s_nop 1
	v_cndmask_b32_e32 v9, v11, v9, vcc
	v_and_b32_e32 v11, 7, v9
	v_cmp_lt_i32_e32 vcc, 5, v11
	v_cmp_eq_u32_e64 s[0:1], 3, v11
	v_lshrrev_b32_e32 v9, 2, v9
	s_or_b64 vcc, s[0:1], vcc
	v_addc_co_u32_e32 v9, vcc, 0, v9, vcc
	v_cmp_gt_i32_e32 vcc, 31, v10
	s_nop 1
	v_cndmask_b32_e32 v9, v0, v9, vcc
	v_cmp_ne_u32_e32 vcc, 0, v4
	s_nop 1
	v_cndmask_b32_e64 v4, 0, 1, vcc
	v_lshl_or_b32 v4, v4, 9, v0
	v_cmp_eq_u32_e32 vcc, s8, v10
	s_nop 1
	v_cndmask_b32_e32 v8, v9, v4, vcc
	v_and_b32_sdwa v9, v5, s9 dst_sel:DWORD dst_unused:UNUSED_PAD src0_sel:WORD_1 src1_sel:DWORD
	v_cvt_f64_f32_e32 v[4:5], v6
	v_mul_f64 v[4:5], v[4:5], s[2:3]
	v_and_or_b32 v4, v5, s6, v4
	v_cmp_ne_u32_e32 vcc, 0, v4
	v_lshrrev_b32_e32 v6, 8, v5
	v_bfe_u32 v10, v5, 20, 11
	v_cndmask_b32_e64 v4, 0, 1, vcc
	v_and_or_b32 v4, v6, s7, v4
	v_sub_u32_e32 v11, 0x3f1, v10
	v_or_b32_e32 v6, 0x1000, v4
	v_med3_i32 v11, v11, 0, 13
	v_lshrrev_b32_e32 v12, v11, v6
	v_lshlrev_b32_e32 v11, v11, v12
	v_cmp_ne_u32_e32 vcc, v11, v6
	v_add_u32_e32 v10, 0xfffffc10, v10
	v_lshl_or_b32 v11, v10, 12, v4
	v_cndmask_b32_e64 v6, 0, 1, vcc
	v_or_b32_e32 v6, v12, v6
	v_cmp_gt_i32_e32 vcc, 1, v10
	v_lshrrev_b32_e32 v5, 16, v5
	s_nop 0
	v_cndmask_b32_e32 v6, v11, v6, vcc
	v_and_b32_e32 v11, 7, v6
	v_cmp_lt_i32_e32 vcc, 5, v11
	v_cmp_eq_u32_e64 s[0:1], 3, v11
	v_lshrrev_b32_e32 v6, 2, v6
	s_or_b64 vcc, s[0:1], vcc
	v_addc_co_u32_e32 v6, vcc, 0, v6, vcc
	v_cmp_gt_i32_e32 vcc, 31, v10
	v_mad_u64_u32 v[2:3], s[0:1], s4, v1, v[2:3]
	s_nop 0
	v_cndmask_b32_e32 v6, v0, v6, vcc
	v_cmp_ne_u32_e32 vcc, 0, v4
	v_add_u32_e32 v3, s5, v3
	s_nop 0
	v_cndmask_b32_e64 v4, 0, 1, vcc
	v_lshl_or_b32 v4, v4, 9, v0
	v_cmp_eq_u32_e32 vcc, s8, v10
	s_nop 1
	v_cndmask_b32_e32 v4, v6, v4, vcc
	v_and_or_b32 v4, v5, s9, v4
	v_bitop3_b32 v5, v9, s10, v8 bitop3:0xc8
	v_lshrrev_b32_e32 v6, 16, v7
	v_lshl_or_b32 v4, v4, 16, v5
	v_mul_f16_sdwa v5, v17, v6 dst_sel:DWORD dst_unused:UNUSED_PAD src0_sel:WORD_1 src1_sel:DWORD
	v_fma_f16 v5, v17, v7, v5
	v_cvt_f32_f16_e32 v5, v5
	global_store_dword v[2:3], v4, off
	v_mul_f16_sdwa v7, v17, v7 dst_sel:DWORD dst_unused:UNUSED_PAD src0_sel:WORD_1 src1_sel:DWORD
	v_fma_f16 v6, v17, v6, -v7
	v_cvt_f64_f32_e32 v[4:5], v5
	v_mul_f64 v[4:5], v[4:5], s[2:3]
	v_and_or_b32 v4, v5, s6, v4
	v_cmp_ne_u32_e32 vcc, 0, v4
	v_lshrrev_b32_e32 v8, 8, v5
	v_bfe_u32 v9, v5, 20, 11
	v_cndmask_b32_e64 v4, 0, 1, vcc
	v_and_or_b32 v4, v8, s7, v4
	v_sub_u32_e32 v10, 0x3f1, v9
	v_or_b32_e32 v8, 0x1000, v4
	v_med3_i32 v10, v10, 0, 13
	v_lshrrev_b32_e32 v11, v10, v8
	v_lshlrev_b32_e32 v10, v10, v11
	v_cmp_ne_u32_e32 vcc, v10, v8
	v_add_u32_e32 v9, 0xfffffc10, v9
	v_lshl_or_b32 v10, v9, 12, v4
	v_cndmask_b32_e64 v8, 0, 1, vcc
	v_or_b32_e32 v8, v11, v8
	v_cmp_gt_i32_e32 vcc, 1, v9
	v_cvt_f32_f16_e32 v6, v6
	s_nop 0
	v_cndmask_b32_e32 v8, v10, v8, vcc
	v_and_b32_e32 v10, 7, v8
	v_cmp_lt_i32_e32 vcc, 5, v10
	v_cmp_eq_u32_e64 s[0:1], 3, v10
	v_lshrrev_b32_e32 v8, 2, v8
	s_or_b64 vcc, s[0:1], vcc
	v_addc_co_u32_e32 v8, vcc, 0, v8, vcc
	v_cmp_gt_i32_e32 vcc, 31, v9
	s_nop 1
	v_cndmask_b32_e32 v8, v0, v8, vcc
	v_cmp_ne_u32_e32 vcc, 0, v4
	s_nop 1
	v_cndmask_b32_e64 v4, 0, 1, vcc
	v_lshl_or_b32 v4, v4, 9, v0
	v_cmp_eq_u32_e32 vcc, s8, v9
	s_nop 1
	v_cndmask_b32_e32 v7, v8, v4, vcc
	v_and_b32_sdwa v8, v5, s9 dst_sel:DWORD dst_unused:UNUSED_PAD src0_sel:WORD_1 src1_sel:DWORD
	v_cvt_f64_f32_e32 v[4:5], v6
	v_mul_f64 v[4:5], v[4:5], s[2:3]
	v_and_or_b32 v4, v5, s6, v4
	v_cmp_ne_u32_e32 vcc, 0, v4
	v_lshrrev_b32_e32 v6, 8, v5
	v_bfe_u32 v9, v5, 20, 11
	v_cndmask_b32_e64 v4, 0, 1, vcc
	v_and_or_b32 v4, v6, s7, v4
	v_sub_u32_e32 v10, 0x3f1, v9
	v_or_b32_e32 v6, 0x1000, v4
	v_med3_i32 v10, v10, 0, 13
	v_lshrrev_b32_e32 v11, v10, v6
	v_lshlrev_b32_e32 v10, v10, v11
	v_cmp_ne_u32_e32 vcc, v10, v6
	v_add_u32_e32 v9, 0xfffffc10, v9
	v_lshl_or_b32 v10, v9, 12, v4
	v_cndmask_b32_e64 v6, 0, 1, vcc
	v_or_b32_e32 v6, v11, v6
	v_cmp_gt_i32_e32 vcc, 1, v9
	s_nop 1
	v_cndmask_b32_e32 v6, v10, v6, vcc
	v_and_b32_e32 v10, 7, v6
	v_cmp_lt_i32_e32 vcc, 5, v10
	v_cmp_eq_u32_e64 s[0:1], 3, v10
	v_lshrrev_b32_e32 v6, 2, v6
	s_or_b64 vcc, s[0:1], vcc
	v_addc_co_u32_e32 v6, vcc, 0, v6, vcc
	v_cmp_gt_i32_e32 vcc, 31, v9
	s_nop 1
	v_cndmask_b32_e32 v6, v0, v6, vcc
	v_cmp_ne_u32_e32 vcc, 0, v4
	s_nop 1
	v_cndmask_b32_e64 v4, 0, 1, vcc
	v_lshl_or_b32 v0, v4, 9, v0
	v_cmp_eq_u32_e32 vcc, s8, v9
	v_lshrrev_b32_e32 v4, 16, v5
	s_nop 0
	v_cndmask_b32_e32 v0, v6, v0, vcc
	v_and_or_b32 v0, v4, s9, v0
	v_bitop3_b32 v4, v8, s10, v7 bitop3:0xc8
	v_lshl_or_b32 v4, v0, 16, v4
	v_mad_u64_u32 v[0:1], s[0:1], s4, v1, v[2:3]
	v_add_u32_e32 v1, s5, v1
	global_store_dword v[0:1], v4, off
.LBB0_18:
	s_endpgm
	.section	.rodata,"a",@progbits
	.p2align	6, 0x0
	.amdhsa_kernel bluestein_single_back_len1800_dim1_half_op_CI_CI
		.amdhsa_group_segment_fixed_size 7200
		.amdhsa_private_segment_fixed_size 0
		.amdhsa_kernarg_size 104
		.amdhsa_user_sgpr_count 2
		.amdhsa_user_sgpr_dispatch_ptr 0
		.amdhsa_user_sgpr_queue_ptr 0
		.amdhsa_user_sgpr_kernarg_segment_ptr 1
		.amdhsa_user_sgpr_dispatch_id 0
		.amdhsa_user_sgpr_kernarg_preload_length 0
		.amdhsa_user_sgpr_kernarg_preload_offset 0
		.amdhsa_user_sgpr_private_segment_size 0
		.amdhsa_uses_dynamic_stack 0
		.amdhsa_enable_private_segment 0
		.amdhsa_system_sgpr_workgroup_id_x 1
		.amdhsa_system_sgpr_workgroup_id_y 0
		.amdhsa_system_sgpr_workgroup_id_z 0
		.amdhsa_system_sgpr_workgroup_info 0
		.amdhsa_system_vgpr_workitem_id 0
		.amdhsa_next_free_vgpr 82
		.amdhsa_next_free_sgpr 18
		.amdhsa_accum_offset 84
		.amdhsa_reserve_vcc 1
		.amdhsa_float_round_mode_32 0
		.amdhsa_float_round_mode_16_64 0
		.amdhsa_float_denorm_mode_32 3
		.amdhsa_float_denorm_mode_16_64 3
		.amdhsa_dx10_clamp 1
		.amdhsa_ieee_mode 1
		.amdhsa_fp16_overflow 0
		.amdhsa_tg_split 0
		.amdhsa_exception_fp_ieee_invalid_op 0
		.amdhsa_exception_fp_denorm_src 0
		.amdhsa_exception_fp_ieee_div_zero 0
		.amdhsa_exception_fp_ieee_overflow 0
		.amdhsa_exception_fp_ieee_underflow 0
		.amdhsa_exception_fp_ieee_inexact 0
		.amdhsa_exception_int_div_zero 0
	.end_amdhsa_kernel
	.text
.Lfunc_end0:
	.size	bluestein_single_back_len1800_dim1_half_op_CI_CI, .Lfunc_end0-bluestein_single_back_len1800_dim1_half_op_CI_CI
                                        ; -- End function
	.section	.AMDGPU.csdata,"",@progbits
; Kernel info:
; codeLenInByte = 17184
; NumSgprs: 24
; NumVgprs: 82
; NumAgprs: 0
; TotalNumVgprs: 82
; ScratchSize: 0
; MemoryBound: 0
; FloatMode: 240
; IeeeMode: 1
; LDSByteSize: 7200 bytes/workgroup (compile time only)
; SGPRBlocks: 2
; VGPRBlocks: 10
; NumSGPRsForWavesPerEU: 24
; NumVGPRsForWavesPerEU: 82
; AccumOffset: 84
; Occupancy: 5
; WaveLimiterHint : 1
; COMPUTE_PGM_RSRC2:SCRATCH_EN: 0
; COMPUTE_PGM_RSRC2:USER_SGPR: 2
; COMPUTE_PGM_RSRC2:TRAP_HANDLER: 0
; COMPUTE_PGM_RSRC2:TGID_X_EN: 1
; COMPUTE_PGM_RSRC2:TGID_Y_EN: 0
; COMPUTE_PGM_RSRC2:TGID_Z_EN: 0
; COMPUTE_PGM_RSRC2:TIDIG_COMP_CNT: 0
; COMPUTE_PGM_RSRC3_GFX90A:ACCUM_OFFSET: 20
; COMPUTE_PGM_RSRC3_GFX90A:TG_SPLIT: 0
	.text
	.p2alignl 6, 3212836864
	.fill 256, 4, 3212836864
	.type	__hip_cuid_c078133958e6d3d8,@object ; @__hip_cuid_c078133958e6d3d8
	.section	.bss,"aw",@nobits
	.globl	__hip_cuid_c078133958e6d3d8
__hip_cuid_c078133958e6d3d8:
	.byte	0                               ; 0x0
	.size	__hip_cuid_c078133958e6d3d8, 1

	.ident	"AMD clang version 19.0.0git (https://github.com/RadeonOpenCompute/llvm-project roc-6.4.0 25133 c7fe45cf4b819c5991fe208aaa96edf142730f1d)"
	.section	".note.GNU-stack","",@progbits
	.addrsig
	.addrsig_sym __hip_cuid_c078133958e6d3d8
	.amdgpu_metadata
---
amdhsa.kernels:
  - .agpr_count:     0
    .args:
      - .actual_access:  read_only
        .address_space:  global
        .offset:         0
        .size:           8
        .value_kind:     global_buffer
      - .actual_access:  read_only
        .address_space:  global
        .offset:         8
        .size:           8
        .value_kind:     global_buffer
      - .actual_access:  read_only
        .address_space:  global
        .offset:         16
        .size:           8
        .value_kind:     global_buffer
      - .actual_access:  read_only
        .address_space:  global
        .offset:         24
        .size:           8
        .value_kind:     global_buffer
      - .actual_access:  read_only
        .address_space:  global
        .offset:         32
        .size:           8
        .value_kind:     global_buffer
      - .offset:         40
        .size:           8
        .value_kind:     by_value
      - .address_space:  global
        .offset:         48
        .size:           8
        .value_kind:     global_buffer
      - .address_space:  global
        .offset:         56
        .size:           8
        .value_kind:     global_buffer
      - .address_space:  global
        .offset:         64
        .size:           8
        .value_kind:     global_buffer
      - .address_space:  global
        .offset:         72
        .size:           8
        .value_kind:     global_buffer
      - .offset:         80
        .size:           4
        .value_kind:     by_value
      - .address_space:  global
        .offset:         88
        .size:           8
        .value_kind:     global_buffer
      - .address_space:  global
        .offset:         96
        .size:           8
        .value_kind:     global_buffer
    .group_segment_fixed_size: 7200
    .kernarg_segment_align: 8
    .kernarg_segment_size: 104
    .language:       OpenCL C
    .language_version:
      - 2
      - 0
    .max_flat_workgroup_size: 180
    .name:           bluestein_single_back_len1800_dim1_half_op_CI_CI
    .private_segment_fixed_size: 0
    .sgpr_count:     24
    .sgpr_spill_count: 0
    .symbol:         bluestein_single_back_len1800_dim1_half_op_CI_CI.kd
    .uniform_work_group_size: 1
    .uses_dynamic_stack: false
    .vgpr_count:     82
    .vgpr_spill_count: 0
    .wavefront_size: 64
amdhsa.target:   amdgcn-amd-amdhsa--gfx950
amdhsa.version:
  - 1
  - 2
...

	.end_amdgpu_metadata
